;; amdgpu-corpus repo=zjin-lcf/HeCBench kind=compiled arch=gfx906 opt=O3
	.amdgcn_target "amdgcn-amd-amdhsa--gfx906"
	.amdhsa_code_object_version 6
	.text
	.protected	_Z13check_connectPK15HIP_vector_typeIfLj3EEPjii ; -- Begin function _Z13check_connectPK15HIP_vector_typeIfLj3EEPjii
	.globl	_Z13check_connectPK15HIP_vector_typeIfLj3EEPjii
	.p2align	8
	.type	_Z13check_connectPK15HIP_vector_typeIfLj3EEPjii,@function
_Z13check_connectPK15HIP_vector_typeIfLj3EEPjii: ; @_Z13check_connectPK15HIP_vector_typeIfLj3EEPjii
; %bb.0:
	s_load_dword s0, s[4:5], 0x24
	s_load_dwordx2 s[8:9], s[4:5], 0x0
	s_load_dwordx2 s[10:11], s[4:5], 0x10
	s_and_b32 s1, s6, 0xffffff
	s_mov_b32 s6, 0x3f36872b
	s_waitcnt lgkmcnt(0)
	s_and_b32 s0, s0, 0xffff
	s_mul_i32 s1, s1, s0
	v_add_u32_e32 v3, s1, v0
	v_mad_u64_u32 v[0:1], s[0:1], v3, 12, s[8:9]
	v_cvt_f32_u32_e32 v4, s10
	s_sub_i32 s0, 0, s10
	global_load_dwordx3 v[0:2], v[0:1], off
	s_mov_b32 s7, 0x3f10624e
	v_rcp_iflag_f32_e32 v4, v4
	v_mul_f32_e32 v4, 0x4f7ffffe, v4
	v_cvt_u32_f32_e32 v4, v4
	v_mul_lo_u32 v5, s0, v4
	v_mul_hi_u32 v5, v4, v5
	v_add_u32_e32 v4, v4, v5
	v_mul_hi_u32 v4, v3, v4
	v_mul_lo_u32 v5, v4, s10
	v_add_u32_e32 v6, 1, v4
	v_sub_u32_e32 v5, v3, v5
	v_cmp_le_u32_e32 vcc, s10, v5
	v_cndmask_b32_e32 v4, v4, v6, vcc
	v_subrev_u32_e32 v6, s10, v5
	v_cndmask_b32_e32 v5, v5, v6, vcc
	v_add_u32_e32 v6, 1, v4
	v_cmp_le_u32_e32 vcc, s10, v5
	v_cndmask_b32_e32 v11, v4, v6, vcc
	v_mul_lo_u32 v7, v11, s10
	v_mov_b32_e32 v4, 0
	v_cmp_lt_i32_e64 s[0:1], 0, v11
	v_add_u32_e32 v15, -1, v11
	v_sub_u32_e32 v5, v3, v7
	v_cmp_lt_i32_e32 vcc, 0, v5
	v_add_u32_e32 v10, -1, v5
	s_waitcnt vmcnt(0)
	v_mul_f32_e32 v1, 0x3f1645a2, v1
	v_fmac_f32_e32 v1, 0x3e991687, v0
	v_fmac_f32_e32 v1, 0x3de978d5, v2
	v_sub_f32_e32 v0, v0, v1
	v_sub_f32_e32 v2, v2, v1
	v_cmp_nlt_f32_e64 s[2:3], 1.0, v1
	v_fma_f32 v0, v0, s6, 0.5
	v_cndmask_b32_e64 v6, 1.0, v1, s[2:3]
	v_fma_f32 v2, v2, s7, 0.5
	v_cmp_nlt_f32_e64 s[2:3], 1.0, v0
	v_cndmask_b32_e64 v8, 1.0, v0, s[2:3]
	v_cmp_nlt_f32_e64 s[2:3], 1.0, v2
	v_mul_f32_e32 v6, 0x437f0000, v6
	v_cndmask_b32_e64 v9, 1.0, v2, s[2:3]
	v_cmp_ngt_f32_e64 s[2:3], 0, v1
	v_cndmask_b32_e64 v1, 0, v6, s[2:3]
	v_mul_f32_e32 v6, 0x437f0000, v9
	v_cmp_ngt_f32_e64 s[2:3], 0, v2
	v_mul_f32_e32 v9, 0x437f0000, v8
	v_cvt_u32_f32_e32 v8, v1
	v_cndmask_b32_e64 v1, 0, v6, s[2:3]
	v_cmp_ngt_f32_e64 s[2:3], 0, v0
	v_cndmask_b32_e64 v0, 0, v9, s[2:3]
	v_cvt_u32_f32_e32 v0, v0
	v_cvt_u32_f32_sdwa v1, v1 dst_sel:WORD_1 dst_unused:UNUSED_PAD src0_sel:DWORD
	s_and_b64 s[2:3], s[0:1], vcc
	v_mov_b32_e32 v9, v4
	v_lshlrev_b32_e32 v0, 8, v0
	v_or3_b32 v6, v1, v0, v8
	s_and_saveexec_b64 s[12:13], s[2:3]
	s_cbranch_execz .LBB0_4
; %bb.1:
	v_cndmask_b32_e64 v1, v11, v15, s[2:3]
	v_cndmask_b32_e64 v0, v5, v10, s[2:3]
	v_mad_u64_u32 v[0:1], s[2:3], v1, s10, v[0:1]
	s_movk_i32 s6, 0xff
	v_mov_b32_e32 v9, 0
	v_mad_i64_i32 v[0:1], s[2:3], v0, 12, s[8:9]
	global_load_dwordx3 v[0:2], v[0:1], off
	s_waitcnt vmcnt(0)
	v_mul_f32_e32 v12, 0x3f1645a2, v1
	v_fmac_f32_e32 v12, 0x3e991687, v0
	v_fmac_f32_e32 v12, 0x3de978d5, v2
	v_cmp_nlt_f32_e64 s[2:3], 1.0, v12
	v_cndmask_b32_e64 v1, 1.0, v12, s[2:3]
	v_mul_f32_e32 v1, 0x437f0000, v1
	v_cmp_ngt_f32_e64 s[2:3], 0, v12
	v_cndmask_b32_e64 v1, 0, v1, s[2:3]
	v_cvt_u32_f32_e32 v1, v1
	v_sub_u32_sdwa v13, v8, v1 dst_sel:DWORD dst_unused:UNUSED_PAD src0_sel:BYTE_0 src1_sel:BYTE_0
	v_sub_u32_e32 v14, 0, v13
	v_max_i32_e32 v13, v13, v14
	v_cmp_gt_u32_e64 s[2:3], 49, v13
	s_and_saveexec_b64 s[14:15], s[2:3]
	s_cbranch_execz .LBB0_3
; %bb.2:
	v_sub_f32_e32 v0, v0, v12
	s_mov_b32 s2, 0x3f36872b
	v_fma_f32 v0, v0, s2, 0.5
	v_sub_f32_e32 v2, v2, v12
	s_mov_b32 s2, 0x3f10624e
	v_fma_f32 v2, v2, s2, 0.5
	v_cmp_nlt_f32_e64 s[2:3], 1.0, v0
	v_cndmask_b32_e64 v9, 1.0, v0, s[2:3]
	v_cmp_nlt_f32_e64 s[2:3], 1.0, v2
	v_cndmask_b32_e64 v12, 1.0, v2, s[2:3]
	v_mul_f32_e32 v12, 0x437f0000, v12
	v_cmp_ngt_f32_e64 s[2:3], 0, v2
	v_cndmask_b32_e64 v2, 0, v12, s[2:3]
	v_mul_f32_e32 v9, 0x437f0000, v9
	v_cmp_ngt_f32_e64 s[2:3], 0, v0
	v_cndmask_b32_e64 v0, 0, v9, s[2:3]
	v_cvt_u32_f32_e32 v0, v0
	v_cvt_u32_f32_sdwa v2, v2 dst_sel:WORD_1 dst_unused:UNUSED_PAD src0_sel:DWORD
	v_lshlrev_b32_e32 v0, 8, v0
	v_or3_b32 v0, v2, v0, v1
	v_and_b32_sdwa v1, v0, s6 dst_sel:DWORD dst_unused:UNUSED_PAD src0_sel:WORD_1 src1_sel:DWORD
	v_lshrrev_b32_e32 v0, 8, v0
	v_sub_u32_sdwa v0, v6, v0 dst_sel:DWORD dst_unused:UNUSED_PAD src0_sel:BYTE_1 src1_sel:BYTE_0
	v_sub_u32_e32 v2, 0, v0
	v_max_i32_e32 v0, v0, v2
	v_cmp_gt_u32_e64 s[2:3], 8, v0
	v_sub_u32_sdwa v0, v6, v1 dst_sel:DWORD dst_unused:UNUSED_PAD src0_sel:BYTE_2 src1_sel:DWORD
	v_sub_u32_e32 v1, 0, v0
	v_max_i32_e32 v0, v0, v1
	v_cmp_gt_u32_e64 s[6:7], 7, v0
	s_and_b64 s[2:3], s[2:3], s[6:7]
	v_cndmask_b32_e64 v9, 0, 1, s[2:3]
.LBB0_3:
	s_or_b64 exec, exec, s[14:15]
.LBB0_4:
	s_or_b64 exec, exec, s[12:13]
	v_mov_b32_e32 v12, 0
	s_and_saveexec_b64 s[12:13], s[0:1]
	s_cbranch_execz .LBB0_8
; %bb.5:
	v_cndmask_b32_e64 v0, v11, v15, s[0:1]
	v_mad_u64_u32 v[0:1], s[2:3], v0, s10, v[5:6]
	s_movk_i32 s6, 0xff
	v_mov_b32_e32 v12, 0
	v_mad_i64_i32 v[0:1], s[2:3], v0, 12, s[8:9]
	global_load_dwordx3 v[0:2], v[0:1], off
	s_waitcnt vmcnt(0)
	v_mul_f32_e32 v13, 0x3f1645a2, v1
	v_fmac_f32_e32 v13, 0x3e991687, v0
	v_fmac_f32_e32 v13, 0x3de978d5, v2
	v_cmp_nlt_f32_e64 s[2:3], 1.0, v13
	v_cndmask_b32_e64 v1, 1.0, v13, s[2:3]
	v_mul_f32_e32 v1, 0x437f0000, v1
	v_cmp_ngt_f32_e64 s[2:3], 0, v13
	v_cndmask_b32_e64 v1, 0, v1, s[2:3]
	v_cvt_u32_f32_e32 v1, v1
	v_sub_u32_sdwa v14, v8, v1 dst_sel:DWORD dst_unused:UNUSED_PAD src0_sel:BYTE_0 src1_sel:BYTE_0
	v_sub_u32_e32 v16, 0, v14
	v_max_i32_e32 v14, v14, v16
	v_cmp_gt_u32_e64 s[2:3], 49, v14
	s_and_saveexec_b64 s[14:15], s[2:3]
	s_cbranch_execz .LBB0_7
; %bb.6:
	v_sub_f32_e32 v0, v0, v13
	s_mov_b32 s2, 0x3f36872b
	v_fma_f32 v0, v0, s2, 0.5
	v_sub_f32_e32 v2, v2, v13
	s_mov_b32 s2, 0x3f10624e
	v_fma_f32 v2, v2, s2, 0.5
	v_cmp_nlt_f32_e64 s[2:3], 1.0, v0
	v_cndmask_b32_e64 v12, 1.0, v0, s[2:3]
	v_cmp_nlt_f32_e64 s[2:3], 1.0, v2
	v_cndmask_b32_e64 v13, 1.0, v2, s[2:3]
	v_mul_f32_e32 v13, 0x437f0000, v13
	v_cmp_ngt_f32_e64 s[2:3], 0, v2
	v_cndmask_b32_e64 v2, 0, v13, s[2:3]
	v_mul_f32_e32 v12, 0x437f0000, v12
	v_cmp_ngt_f32_e64 s[2:3], 0, v0
	v_cndmask_b32_e64 v0, 0, v12, s[2:3]
	v_cvt_u32_f32_e32 v0, v0
	v_cvt_u32_f32_sdwa v2, v2 dst_sel:WORD_1 dst_unused:UNUSED_PAD src0_sel:DWORD
	v_lshlrev_b32_e32 v0, 8, v0
	v_or3_b32 v0, v2, v0, v1
	v_and_b32_sdwa v1, v0, s6 dst_sel:DWORD dst_unused:UNUSED_PAD src0_sel:WORD_1 src1_sel:DWORD
	v_lshrrev_b32_e32 v0, 8, v0
	v_sub_u32_sdwa v0, v6, v0 dst_sel:DWORD dst_unused:UNUSED_PAD src0_sel:BYTE_1 src1_sel:BYTE_0
	v_sub_u32_e32 v2, 0, v0
	v_max_i32_e32 v0, v0, v2
	v_cmp_gt_u32_e64 s[2:3], 8, v0
	v_sub_u32_sdwa v0, v6, v1 dst_sel:DWORD dst_unused:UNUSED_PAD src0_sel:BYTE_2 src1_sel:DWORD
	v_sub_u32_e32 v1, 0, v0
	v_max_i32_e32 v0, v0, v1
	v_cmp_gt_u32_e64 s[6:7], 7, v0
	s_and_b64 s[2:3], s[2:3], s[6:7]
	v_cndmask_b32_e64 v12, 0, 2, s[2:3]
.LBB0_7:
	s_or_b64 exec, exec, s[14:15]
.LBB0_8:
	s_or_b64 exec, exec, s[12:13]
	s_add_i32 s2, s10, -1
	v_cmp_gt_i32_e64 s[2:3], s2, v5
	s_and_b64 s[0:1], s[0:1], s[2:3]
	v_add_u32_e32 v17, 1, v5
	v_mov_b32_e32 v13, 0
	v_mov_b32_e32 v14, 0
	s_and_saveexec_b64 s[12:13], s[0:1]
	s_cbranch_execz .LBB0_12
; %bb.9:
	v_cndmask_b32_e64 v1, v11, v15, s[0:1]
	v_cndmask_b32_e64 v0, v5, v17, s[0:1]
	v_mad_u64_u32 v[0:1], s[0:1], v1, s10, v[0:1]
	s_movk_i32 s6, 0xff
	v_mov_b32_e32 v14, 0
	v_mad_i64_i32 v[0:1], s[0:1], v0, 12, s[8:9]
	global_load_dwordx3 v[0:2], v[0:1], off
	s_waitcnt vmcnt(0)
	v_mul_f32_e32 v15, 0x3f1645a2, v1
	v_fmac_f32_e32 v15, 0x3e991687, v0
	v_fmac_f32_e32 v15, 0x3de978d5, v2
	v_cmp_nlt_f32_e64 s[0:1], 1.0, v15
	v_cndmask_b32_e64 v1, 1.0, v15, s[0:1]
	v_mul_f32_e32 v1, 0x437f0000, v1
	v_cmp_ngt_f32_e64 s[0:1], 0, v15
	v_cndmask_b32_e64 v1, 0, v1, s[0:1]
	v_cvt_u32_f32_e32 v1, v1
	v_sub_u32_sdwa v16, v8, v1 dst_sel:DWORD dst_unused:UNUSED_PAD src0_sel:BYTE_0 src1_sel:BYTE_0
	v_sub_u32_e32 v18, 0, v16
	v_max_i32_e32 v16, v16, v18
	v_cmp_gt_u32_e64 s[0:1], 49, v16
	s_and_saveexec_b64 s[14:15], s[0:1]
	s_cbranch_execz .LBB0_11
; %bb.10:
	v_sub_f32_e32 v0, v0, v15
	s_mov_b32 s0, 0x3f36872b
	v_fma_f32 v0, v0, s0, 0.5
	v_sub_f32_e32 v2, v2, v15
	s_mov_b32 s0, 0x3f10624e
	v_fma_f32 v2, v2, s0, 0.5
	v_cmp_nlt_f32_e64 s[0:1], 1.0, v0
	v_cndmask_b32_e64 v14, 1.0, v0, s[0:1]
	v_cmp_nlt_f32_e64 s[0:1], 1.0, v2
	v_cndmask_b32_e64 v15, 1.0, v2, s[0:1]
	v_mul_f32_e32 v15, 0x437f0000, v15
	v_cmp_ngt_f32_e64 s[0:1], 0, v2
	v_cndmask_b32_e64 v2, 0, v15, s[0:1]
	v_mul_f32_e32 v14, 0x437f0000, v14
	v_cmp_ngt_f32_e64 s[0:1], 0, v0
	v_cndmask_b32_e64 v0, 0, v14, s[0:1]
	v_cvt_u32_f32_e32 v0, v0
	v_cvt_u32_f32_sdwa v2, v2 dst_sel:WORD_1 dst_unused:UNUSED_PAD src0_sel:DWORD
	v_lshlrev_b32_e32 v0, 8, v0
	v_or3_b32 v0, v2, v0, v1
	v_and_b32_sdwa v1, v0, s6 dst_sel:DWORD dst_unused:UNUSED_PAD src0_sel:WORD_1 src1_sel:DWORD
	v_lshrrev_b32_e32 v0, 8, v0
	v_sub_u32_sdwa v0, v6, v0 dst_sel:DWORD dst_unused:UNUSED_PAD src0_sel:BYTE_1 src1_sel:BYTE_0
	v_sub_u32_e32 v2, 0, v0
	v_max_i32_e32 v0, v0, v2
	v_cmp_gt_u32_e64 s[0:1], 8, v0
	v_sub_u32_sdwa v0, v6, v1 dst_sel:DWORD dst_unused:UNUSED_PAD src0_sel:BYTE_2 src1_sel:DWORD
	v_sub_u32_e32 v1, 0, v0
	v_max_i32_e32 v0, v0, v1
	v_cmp_gt_u32_e64 s[6:7], 7, v0
	s_and_b64 s[0:1], s[0:1], s[6:7]
	v_cndmask_b32_e64 v14, 0, 4, s[0:1]
.LBB0_11:
	s_or_b64 exec, exec, s[14:15]
.LBB0_12:
	s_or_b64 exec, exec, s[12:13]
	s_and_saveexec_b64 s[12:13], s[2:3]
	s_cbranch_execz .LBB0_16
; %bb.13:
	v_cndmask_b32_e64 v0, v5, v17, s[2:3]
	v_add_u32_e32 v0, v0, v7
	v_mad_i64_i32 v[0:1], s[0:1], v0, 12, s[8:9]
	s_movk_i32 s6, 0xff
	v_mov_b32_e32 v13, 0
	global_load_dwordx3 v[0:2], v[0:1], off
	s_waitcnt vmcnt(0)
	v_mul_f32_e32 v15, 0x3f1645a2, v1
	v_fmac_f32_e32 v15, 0x3e991687, v0
	v_fmac_f32_e32 v15, 0x3de978d5, v2
	v_cmp_nlt_f32_e64 s[0:1], 1.0, v15
	v_cndmask_b32_e64 v1, 1.0, v15, s[0:1]
	v_mul_f32_e32 v1, 0x437f0000, v1
	v_cmp_ngt_f32_e64 s[0:1], 0, v15
	v_cndmask_b32_e64 v1, 0, v1, s[0:1]
	v_cvt_u32_f32_e32 v1, v1
	v_sub_u32_sdwa v16, v8, v1 dst_sel:DWORD dst_unused:UNUSED_PAD src0_sel:BYTE_0 src1_sel:BYTE_0
	v_sub_u32_e32 v18, 0, v16
	v_max_i32_e32 v16, v16, v18
	v_cmp_gt_u32_e64 s[0:1], 49, v16
	s_and_saveexec_b64 s[14:15], s[0:1]
	s_cbranch_execz .LBB0_15
; %bb.14:
	v_sub_f32_e32 v0, v0, v15
	s_mov_b32 s0, 0x3f36872b
	v_fma_f32 v0, v0, s0, 0.5
	v_sub_f32_e32 v2, v2, v15
	s_mov_b32 s0, 0x3f10624e
	v_fma_f32 v2, v2, s0, 0.5
	v_cmp_nlt_f32_e64 s[0:1], 1.0, v0
	v_cndmask_b32_e64 v13, 1.0, v0, s[0:1]
	v_cmp_nlt_f32_e64 s[0:1], 1.0, v2
	v_cndmask_b32_e64 v15, 1.0, v2, s[0:1]
	v_mul_f32_e32 v15, 0x437f0000, v15
	v_cmp_ngt_f32_e64 s[0:1], 0, v2
	v_cndmask_b32_e64 v2, 0, v15, s[0:1]
	v_mul_f32_e32 v13, 0x437f0000, v13
	v_cmp_ngt_f32_e64 s[0:1], 0, v0
	v_cndmask_b32_e64 v0, 0, v13, s[0:1]
	v_cvt_u32_f32_e32 v0, v0
	v_cvt_u32_f32_sdwa v2, v2 dst_sel:WORD_1 dst_unused:UNUSED_PAD src0_sel:DWORD
	v_lshlrev_b32_e32 v0, 8, v0
	v_or3_b32 v0, v2, v0, v1
	v_and_b32_sdwa v1, v0, s6 dst_sel:DWORD dst_unused:UNUSED_PAD src0_sel:WORD_1 src1_sel:DWORD
	v_lshrrev_b32_e32 v0, 8, v0
	v_sub_u32_sdwa v0, v6, v0 dst_sel:DWORD dst_unused:UNUSED_PAD src0_sel:BYTE_1 src1_sel:BYTE_0
	v_sub_u32_e32 v2, 0, v0
	v_max_i32_e32 v0, v0, v2
	v_cmp_gt_u32_e64 s[0:1], 8, v0
	v_sub_u32_sdwa v0, v6, v1 dst_sel:DWORD dst_unused:UNUSED_PAD src0_sel:BYTE_2 src1_sel:DWORD
	v_sub_u32_e32 v1, 0, v0
	v_max_i32_e32 v0, v0, v1
	v_cmp_gt_u32_e64 s[6:7], 7, v0
	s_and_b64 s[0:1], s[0:1], s[6:7]
	v_cndmask_b32_e64 v13, 0, 8, s[0:1]
.LBB0_15:
	s_or_b64 exec, exec, s[14:15]
.LBB0_16:
	s_or_b64 exec, exec, s[12:13]
	s_add_i32 s0, s11, -1
	v_cmp_gt_i32_e64 s[0:1], s0, v11
	s_and_b64 s[2:3], s[0:1], s[2:3]
	v_add_u32_e32 v18, 1, v11
	v_mov_b32_e32 v15, 0
	v_mov_b32_e32 v16, 0
	s_and_saveexec_b64 s[12:13], s[2:3]
	s_cbranch_execz .LBB0_20
; %bb.17:
	v_cndmask_b32_e64 v1, v11, v18, s[2:3]
	v_cndmask_b32_e64 v0, v5, v17, s[2:3]
	v_mad_u64_u32 v[0:1], s[2:3], v1, s10, v[0:1]
	s_movk_i32 s6, 0xff
	v_mov_b32_e32 v16, 0
	v_mad_i64_i32 v[0:1], s[2:3], v0, 12, s[8:9]
	global_load_dwordx3 v[0:2], v[0:1], off
	s_waitcnt vmcnt(0)
	v_mul_f32_e32 v17, 0x3f1645a2, v1
	v_fmac_f32_e32 v17, 0x3e991687, v0
	v_fmac_f32_e32 v17, 0x3de978d5, v2
	v_cmp_nlt_f32_e64 s[2:3], 1.0, v17
	v_cndmask_b32_e64 v1, 1.0, v17, s[2:3]
	v_mul_f32_e32 v1, 0x437f0000, v1
	v_cmp_ngt_f32_e64 s[2:3], 0, v17
	v_cndmask_b32_e64 v1, 0, v1, s[2:3]
	v_cvt_u32_f32_e32 v1, v1
	v_sub_u32_sdwa v19, v8, v1 dst_sel:DWORD dst_unused:UNUSED_PAD src0_sel:BYTE_0 src1_sel:BYTE_0
	v_sub_u32_e32 v20, 0, v19
	v_max_i32_e32 v19, v19, v20
	v_cmp_gt_u32_e64 s[2:3], 49, v19
	s_and_saveexec_b64 s[14:15], s[2:3]
	s_cbranch_execz .LBB0_19
; %bb.18:
	v_sub_f32_e32 v0, v0, v17
	s_mov_b32 s2, 0x3f36872b
	v_fma_f32 v0, v0, s2, 0.5
	v_sub_f32_e32 v2, v2, v17
	s_mov_b32 s2, 0x3f10624e
	v_fma_f32 v2, v2, s2, 0.5
	v_cmp_nlt_f32_e64 s[2:3], 1.0, v0
	v_cndmask_b32_e64 v16, 1.0, v0, s[2:3]
	v_cmp_nlt_f32_e64 s[2:3], 1.0, v2
	v_cndmask_b32_e64 v17, 1.0, v2, s[2:3]
	v_mul_f32_e32 v17, 0x437f0000, v17
	v_cmp_ngt_f32_e64 s[2:3], 0, v2
	v_cndmask_b32_e64 v2, 0, v17, s[2:3]
	v_mul_f32_e32 v16, 0x437f0000, v16
	v_cmp_ngt_f32_e64 s[2:3], 0, v0
	v_cndmask_b32_e64 v0, 0, v16, s[2:3]
	v_cvt_u32_f32_e32 v0, v0
	v_cvt_u32_f32_sdwa v2, v2 dst_sel:WORD_1 dst_unused:UNUSED_PAD src0_sel:DWORD
	v_lshlrev_b32_e32 v0, 8, v0
	v_or3_b32 v0, v2, v0, v1
	v_and_b32_sdwa v1, v0, s6 dst_sel:DWORD dst_unused:UNUSED_PAD src0_sel:WORD_1 src1_sel:DWORD
	v_lshrrev_b32_e32 v0, 8, v0
	v_sub_u32_sdwa v0, v6, v0 dst_sel:DWORD dst_unused:UNUSED_PAD src0_sel:BYTE_1 src1_sel:BYTE_0
	v_sub_u32_e32 v2, 0, v0
	v_max_i32_e32 v0, v0, v2
	v_cmp_gt_u32_e64 s[2:3], 8, v0
	v_sub_u32_sdwa v0, v6, v1 dst_sel:DWORD dst_unused:UNUSED_PAD src0_sel:BYTE_2 src1_sel:DWORD
	v_sub_u32_e32 v1, 0, v0
	v_max_i32_e32 v0, v0, v1
	v_cmp_gt_u32_e64 s[6:7], 7, v0
	s_and_b64 s[2:3], s[2:3], s[6:7]
	v_cndmask_b32_e64 v16, 0, 16, s[2:3]
.LBB0_19:
	s_or_b64 exec, exec, s[14:15]
.LBB0_20:
	s_or_b64 exec, exec, s[12:13]
	s_and_saveexec_b64 s[12:13], s[0:1]
	s_cbranch_execz .LBB0_24
; %bb.21:
	v_cndmask_b32_e64 v0, v11, v18, s[0:1]
	v_mad_u64_u32 v[0:1], s[2:3], v0, s10, v[5:6]
	s_movk_i32 s6, 0xff
	v_mov_b32_e32 v15, 0
	v_mad_i64_i32 v[0:1], s[2:3], v0, 12, s[8:9]
	global_load_dwordx3 v[0:2], v[0:1], off
	s_waitcnt vmcnt(0)
	v_mul_f32_e32 v17, 0x3f1645a2, v1
	v_fmac_f32_e32 v17, 0x3e991687, v0
	v_fmac_f32_e32 v17, 0x3de978d5, v2
	v_cmp_nlt_f32_e64 s[2:3], 1.0, v17
	v_cndmask_b32_e64 v1, 1.0, v17, s[2:3]
	v_mul_f32_e32 v1, 0x437f0000, v1
	v_cmp_ngt_f32_e64 s[2:3], 0, v17
	v_cndmask_b32_e64 v1, 0, v1, s[2:3]
	v_cvt_u32_f32_e32 v1, v1
	v_sub_u32_sdwa v19, v8, v1 dst_sel:DWORD dst_unused:UNUSED_PAD src0_sel:BYTE_0 src1_sel:BYTE_0
	v_sub_u32_e32 v20, 0, v19
	v_max_i32_e32 v19, v19, v20
	v_cmp_gt_u32_e64 s[2:3], 49, v19
	s_and_saveexec_b64 s[14:15], s[2:3]
	s_cbranch_execz .LBB0_23
; %bb.22:
	v_sub_f32_e32 v0, v0, v17
	s_mov_b32 s2, 0x3f36872b
	v_fma_f32 v0, v0, s2, 0.5
	v_sub_f32_e32 v2, v2, v17
	s_mov_b32 s2, 0x3f10624e
	v_fma_f32 v2, v2, s2, 0.5
	v_cmp_nlt_f32_e64 s[2:3], 1.0, v0
	v_cndmask_b32_e64 v15, 1.0, v0, s[2:3]
	v_cmp_nlt_f32_e64 s[2:3], 1.0, v2
	v_cndmask_b32_e64 v17, 1.0, v2, s[2:3]
	v_mul_f32_e32 v17, 0x437f0000, v17
	v_cmp_ngt_f32_e64 s[2:3], 0, v2
	v_cndmask_b32_e64 v2, 0, v17, s[2:3]
	v_mul_f32_e32 v15, 0x437f0000, v15
	v_cmp_ngt_f32_e64 s[2:3], 0, v0
	v_cndmask_b32_e64 v0, 0, v15, s[2:3]
	v_cvt_u32_f32_e32 v0, v0
	v_cvt_u32_f32_sdwa v2, v2 dst_sel:WORD_1 dst_unused:UNUSED_PAD src0_sel:DWORD
	v_lshlrev_b32_e32 v0, 8, v0
	v_or3_b32 v0, v2, v0, v1
	v_and_b32_sdwa v1, v0, s6 dst_sel:DWORD dst_unused:UNUSED_PAD src0_sel:WORD_1 src1_sel:DWORD
	v_lshrrev_b32_e32 v0, 8, v0
	v_sub_u32_sdwa v0, v6, v0 dst_sel:DWORD dst_unused:UNUSED_PAD src0_sel:BYTE_1 src1_sel:BYTE_0
	v_sub_u32_e32 v2, 0, v0
	v_max_i32_e32 v0, v0, v2
	v_cmp_gt_u32_e64 s[2:3], 8, v0
	v_sub_u32_sdwa v0, v6, v1 dst_sel:DWORD dst_unused:UNUSED_PAD src0_sel:BYTE_2 src1_sel:DWORD
	v_sub_u32_e32 v1, 0, v0
	v_max_i32_e32 v0, v0, v1
	v_cmp_gt_u32_e64 s[6:7], 7, v0
	s_and_b64 s[2:3], s[2:3], s[6:7]
	v_cndmask_b32_e64 v15, 0, 32, s[2:3]
.LBB0_23:
	s_or_b64 exec, exec, s[14:15]
.LBB0_24:
	s_or_b64 exec, exec, s[12:13]
	s_load_dwordx2 s[4:5], s[4:5], 0x8
	s_and_b64 s[0:1], s[0:1], vcc
	v_mov_b32_e32 v17, 0
	v_mov_b32_e32 v19, 0
	s_and_saveexec_b64 s[6:7], s[0:1]
	s_cbranch_execz .LBB0_28
; %bb.25:
	v_cndmask_b32_e64 v1, v11, v18, s[0:1]
	v_cndmask_b32_e64 v0, v5, v10, s[0:1]
	v_mad_u64_u32 v[0:1], s[0:1], v1, s10, v[0:1]
	s_movk_i32 s2, 0xff
	v_mov_b32_e32 v19, 0
	v_mad_i64_i32 v[0:1], s[0:1], v0, 12, s[8:9]
	global_load_dwordx3 v[0:2], v[0:1], off
	s_waitcnt vmcnt(0)
	v_mul_f32_e32 v11, 0x3f1645a2, v1
	v_fmac_f32_e32 v11, 0x3e991687, v0
	v_fmac_f32_e32 v11, 0x3de978d5, v2
	v_cmp_nlt_f32_e64 s[0:1], 1.0, v11
	v_cndmask_b32_e64 v1, 1.0, v11, s[0:1]
	v_mul_f32_e32 v1, 0x437f0000, v1
	v_cmp_ngt_f32_e64 s[0:1], 0, v11
	v_cndmask_b32_e64 v1, 0, v1, s[0:1]
	v_cvt_u32_f32_e32 v1, v1
	v_sub_u32_sdwa v18, v8, v1 dst_sel:DWORD dst_unused:UNUSED_PAD src0_sel:BYTE_0 src1_sel:BYTE_0
	v_sub_u32_e32 v20, 0, v18
	v_max_i32_e32 v18, v18, v20
	v_cmp_gt_u32_e64 s[0:1], 49, v18
	s_and_saveexec_b64 s[10:11], s[0:1]
	s_cbranch_execz .LBB0_27
; %bb.26:
	v_sub_f32_e32 v0, v0, v11
	s_mov_b32 s0, 0x3f36872b
	v_fma_f32 v0, v0, s0, 0.5
	v_sub_f32_e32 v2, v2, v11
	s_mov_b32 s0, 0x3f10624e
	v_fma_f32 v2, v2, s0, 0.5
	v_cmp_nlt_f32_e64 s[0:1], 1.0, v0
	v_cndmask_b32_e64 v11, 1.0, v0, s[0:1]
	v_cmp_nlt_f32_e64 s[0:1], 1.0, v2
	v_cndmask_b32_e64 v18, 1.0, v2, s[0:1]
	v_mul_f32_e32 v18, 0x437f0000, v18
	v_cmp_ngt_f32_e64 s[0:1], 0, v2
	v_cndmask_b32_e64 v2, 0, v18, s[0:1]
	v_mul_f32_e32 v11, 0x437f0000, v11
	v_cmp_ngt_f32_e64 s[0:1], 0, v0
	v_cndmask_b32_e64 v0, 0, v11, s[0:1]
	v_cvt_u32_f32_e32 v0, v0
	v_cvt_u32_f32_sdwa v2, v2 dst_sel:WORD_1 dst_unused:UNUSED_PAD src0_sel:DWORD
	v_lshlrev_b32_e32 v0, 8, v0
	v_or3_b32 v0, v2, v0, v1
	v_and_b32_sdwa v1, v0, s2 dst_sel:DWORD dst_unused:UNUSED_PAD src0_sel:WORD_1 src1_sel:DWORD
	v_lshrrev_b32_e32 v0, 8, v0
	v_sub_u32_sdwa v0, v6, v0 dst_sel:DWORD dst_unused:UNUSED_PAD src0_sel:BYTE_1 src1_sel:BYTE_0
	v_sub_u32_e32 v2, 0, v0
	v_max_i32_e32 v0, v0, v2
	v_cmp_gt_u32_e64 s[0:1], 8, v0
	v_sub_u32_sdwa v0, v6, v1 dst_sel:DWORD dst_unused:UNUSED_PAD src0_sel:BYTE_2 src1_sel:DWORD
	v_sub_u32_e32 v1, 0, v0
	v_max_i32_e32 v0, v0, v1
	v_cmp_gt_u32_e64 s[2:3], 7, v0
	s_and_b64 s[0:1], s[0:1], s[2:3]
	v_cndmask_b32_e64 v19, 0, 64, s[0:1]
.LBB0_27:
	s_or_b64 exec, exec, s[10:11]
.LBB0_28:
	s_or_b64 exec, exec, s[6:7]
	s_and_saveexec_b64 s[2:3], vcc
	s_cbranch_execz .LBB0_32
; %bb.29:
	v_cndmask_b32_e32 v0, v5, v10, vcc
	v_add_u32_e32 v0, v0, v7
	v_mad_i64_i32 v[0:1], s[0:1], v0, 12, s[8:9]
	s_movk_i32 s0, 0xff
	v_mov_b32_e32 v17, 0
	global_load_dwordx3 v[0:2], v[0:1], off
	s_waitcnt vmcnt(0)
	v_mul_f32_e32 v5, 0x3f1645a2, v1
	v_fmac_f32_e32 v5, 0x3e991687, v0
	v_fmac_f32_e32 v5, 0x3de978d5, v2
	v_cmp_nlt_f32_e32 vcc, 1.0, v5
	v_cndmask_b32_e32 v1, 1.0, v5, vcc
	v_mul_f32_e32 v1, 0x437f0000, v1
	v_cmp_ngt_f32_e32 vcc, 0, v5
	v_cndmask_b32_e32 v1, 0, v1, vcc
	v_cvt_u32_f32_e32 v1, v1
	v_sub_u32_sdwa v7, v8, v1 dst_sel:DWORD dst_unused:UNUSED_PAD src0_sel:BYTE_0 src1_sel:BYTE_0
	v_sub_u32_e32 v8, 0, v7
	v_max_i32_e32 v7, v7, v8
	v_cmp_gt_u32_e32 vcc, 49, v7
	s_and_saveexec_b64 s[6:7], vcc
	s_cbranch_execz .LBB0_31
; %bb.30:
	v_sub_f32_e32 v0, v0, v5
	s_mov_b32 s1, 0x3f36872b
	v_fma_f32 v0, v0, s1, 0.5
	v_sub_f32_e32 v2, v2, v5
	s_mov_b32 s1, 0x3f10624e
	v_fma_f32 v2, v2, s1, 0.5
	v_cmp_nlt_f32_e32 vcc, 1.0, v0
	v_cndmask_b32_e32 v5, 1.0, v0, vcc
	v_cmp_nlt_f32_e32 vcc, 1.0, v2
	v_cndmask_b32_e32 v7, 1.0, v2, vcc
	v_mul_f32_e32 v7, 0x437f0000, v7
	v_cmp_ngt_f32_e32 vcc, 0, v2
	v_cndmask_b32_e32 v2, 0, v7, vcc
	v_mul_f32_e32 v5, 0x437f0000, v5
	v_cmp_ngt_f32_e32 vcc, 0, v0
	v_cndmask_b32_e32 v0, 0, v5, vcc
	v_cvt_u32_f32_e32 v0, v0
	v_cvt_u32_f32_sdwa v2, v2 dst_sel:WORD_1 dst_unused:UNUSED_PAD src0_sel:DWORD
	v_lshlrev_b32_e32 v0, 8, v0
	v_or3_b32 v0, v2, v0, v1
	v_and_b32_sdwa v1, v0, s0 dst_sel:DWORD dst_unused:UNUSED_PAD src0_sel:WORD_1 src1_sel:DWORD
	v_lshrrev_b32_e32 v0, 8, v0
	v_sub_u32_sdwa v0, v6, v0 dst_sel:DWORD dst_unused:UNUSED_PAD src0_sel:BYTE_1 src1_sel:BYTE_0
	v_sub_u32_e32 v2, 0, v0
	v_max_i32_e32 v0, v0, v2
	v_cmp_gt_u32_e32 vcc, 8, v0
	v_sub_u32_sdwa v0, v6, v1 dst_sel:DWORD dst_unused:UNUSED_PAD src0_sel:BYTE_2 src1_sel:DWORD
	v_sub_u32_e32 v1, 0, v0
	v_max_i32_e32 v0, v0, v1
	v_cmp_gt_u32_e64 s[0:1], 7, v0
	v_mov_b32_e32 v0, 0x80
	s_and_b64 vcc, vcc, s[0:1]
	v_cndmask_b32_e32 v17, 0, v0, vcc
.LBB0_31:
	s_or_b64 exec, exec, s[6:7]
.LBB0_32:
	s_or_b64 exec, exec, s[2:3]
	v_lshl_or_b32 v0, v6, 8, v9
	v_or3_b32 v0, v0, v12, v14
	v_or3_b32 v0, v0, v13, v16
	v_add_u32_e32 v0, v0, v15
	v_add3_u32 v2, v0, v19, v17
	v_lshlrev_b64 v[0:1], 2, v[3:4]
	s_waitcnt lgkmcnt(0)
	v_mov_b32_e32 v3, s5
	v_add_co_u32_e32 v0, vcc, s4, v0
	v_addc_co_u32_e32 v1, vcc, v3, v1, vcc
	global_store_dword v[0:1], v2, off
	s_endpgm
	.section	.rodata,"a",@progbits
	.p2align	6, 0x0
	.amdhsa_kernel _Z13check_connectPK15HIP_vector_typeIfLj3EEPjii
		.amdhsa_group_segment_fixed_size 0
		.amdhsa_private_segment_fixed_size 0
		.amdhsa_kernarg_size 280
		.amdhsa_user_sgpr_count 6
		.amdhsa_user_sgpr_private_segment_buffer 1
		.amdhsa_user_sgpr_dispatch_ptr 0
		.amdhsa_user_sgpr_queue_ptr 0
		.amdhsa_user_sgpr_kernarg_segment_ptr 1
		.amdhsa_user_sgpr_dispatch_id 0
		.amdhsa_user_sgpr_flat_scratch_init 0
		.amdhsa_user_sgpr_private_segment_size 0
		.amdhsa_uses_dynamic_stack 0
		.amdhsa_system_sgpr_private_segment_wavefront_offset 0
		.amdhsa_system_sgpr_workgroup_id_x 1
		.amdhsa_system_sgpr_workgroup_id_y 0
		.amdhsa_system_sgpr_workgroup_id_z 0
		.amdhsa_system_sgpr_workgroup_info 0
		.amdhsa_system_vgpr_workitem_id 0
		.amdhsa_next_free_vgpr 21
		.amdhsa_next_free_sgpr 16
		.amdhsa_reserve_vcc 1
		.amdhsa_reserve_flat_scratch 0
		.amdhsa_float_round_mode_32 0
		.amdhsa_float_round_mode_16_64 0
		.amdhsa_float_denorm_mode_32 3
		.amdhsa_float_denorm_mode_16_64 3
		.amdhsa_dx10_clamp 1
		.amdhsa_ieee_mode 1
		.amdhsa_fp16_overflow 0
		.amdhsa_exception_fp_ieee_invalid_op 0
		.amdhsa_exception_fp_denorm_src 0
		.amdhsa_exception_fp_ieee_div_zero 0
		.amdhsa_exception_fp_ieee_overflow 0
		.amdhsa_exception_fp_ieee_underflow 0
		.amdhsa_exception_fp_ieee_inexact 0
		.amdhsa_exception_int_div_zero 0
	.end_amdhsa_kernel
	.text
.Lfunc_end0:
	.size	_Z13check_connectPK15HIP_vector_typeIfLj3EEPjii, .Lfunc_end0-_Z13check_connectPK15HIP_vector_typeIfLj3EEPjii
                                        ; -- End function
	.set _Z13check_connectPK15HIP_vector_typeIfLj3EEPjii.num_vgpr, 21
	.set _Z13check_connectPK15HIP_vector_typeIfLj3EEPjii.num_agpr, 0
	.set _Z13check_connectPK15HIP_vector_typeIfLj3EEPjii.numbered_sgpr, 16
	.set _Z13check_connectPK15HIP_vector_typeIfLj3EEPjii.num_named_barrier, 0
	.set _Z13check_connectPK15HIP_vector_typeIfLj3EEPjii.private_seg_size, 0
	.set _Z13check_connectPK15HIP_vector_typeIfLj3EEPjii.uses_vcc, 1
	.set _Z13check_connectPK15HIP_vector_typeIfLj3EEPjii.uses_flat_scratch, 0
	.set _Z13check_connectPK15HIP_vector_typeIfLj3EEPjii.has_dyn_sized_stack, 0
	.set _Z13check_connectPK15HIP_vector_typeIfLj3EEPjii.has_recursion, 0
	.set _Z13check_connectPK15HIP_vector_typeIfLj3EEPjii.has_indirect_call, 0
	.section	.AMDGPU.csdata,"",@progbits
; Kernel info:
; codeLenInByte = 3552
; TotalNumSgprs: 20
; NumVgprs: 21
; ScratchSize: 0
; MemoryBound: 0
; FloatMode: 240
; IeeeMode: 1
; LDSByteSize: 0 bytes/workgroup (compile time only)
; SGPRBlocks: 2
; VGPRBlocks: 5
; NumSGPRsForWavesPerEU: 20
; NumVGPRsForWavesPerEU: 21
; Occupancy: 10
; WaveLimiterHint : 0
; COMPUTE_PGM_RSRC2:SCRATCH_EN: 0
; COMPUTE_PGM_RSRC2:USER_SGPR: 6
; COMPUTE_PGM_RSRC2:TRAP_HANDLER: 0
; COMPUTE_PGM_RSRC2:TGID_X_EN: 1
; COMPUTE_PGM_RSRC2:TGID_Y_EN: 0
; COMPUTE_PGM_RSRC2:TGID_Z_EN: 0
; COMPUTE_PGM_RSRC2:TIDIG_COMP_CNT: 0
	.text
	.protected	_Z17eliminate_crossesPKjPjii ; -- Begin function _Z17eliminate_crossesPKjPjii
	.globl	_Z17eliminate_crossesPKjPjii
	.p2align	8
	.type	_Z17eliminate_crossesPKjPjii,@function
_Z17eliminate_crossesPKjPjii:           ; @_Z17eliminate_crossesPKjPjii
; %bb.0:
	s_load_dword s0, s[4:5], 0x24
	s_load_dwordx4 s[8:11], s[4:5], 0x0
	s_load_dwordx2 s[12:13], s[4:5], 0x10
	s_and_b32 s1, s6, 0xffffff
	v_mov_b32_e32 v4, 0
	s_waitcnt lgkmcnt(0)
	s_and_b32 s0, s0, 0xffff
	s_mul_i32 s1, s1, s0
	v_add_u32_e32 v3, s1, v0
	v_lshlrev_b64 v[0:1], 2, v[3:4]
	v_mov_b32_e32 v2, s9
	v_add_co_u32_e32 v5, vcc, s8, v0
	v_addc_co_u32_e32 v6, vcc, v2, v1, vcc
	global_load_dword v7, v[5:6], off
	v_cvt_f32_u32_e32 v2, s12
	s_sub_i32 s0, 0, s12
	s_add_i32 s3, s12, -1
	s_add_i32 s2, s13, -1
	v_rcp_iflag_f32_e32 v2, v2
	v_mul_f32_e32 v2, 0x4f7ffffe, v2
	v_cvt_u32_f32_e32 v2, v2
	v_mul_lo_u32 v5, s0, v2
	v_mul_hi_u32 v5, v2, v5
	v_add_u32_e32 v2, v2, v5
	v_mul_hi_u32 v2, v3, v2
	v_mul_lo_u32 v5, v2, s12
	v_add_u32_e32 v6, 1, v2
	v_sub_u32_e32 v5, v3, v5
	v_cmp_le_u32_e32 vcc, s12, v5
	v_cndmask_b32_e32 v2, v2, v6, vcc
	v_subrev_u32_e32 v6, s12, v5
	v_cndmask_b32_e32 v5, v5, v6, vcc
	v_add_u32_e32 v6, 1, v2
	v_cmp_le_u32_e32 vcc, s12, v5
	v_cndmask_b32_e32 v12, v2, v6, vcc
	v_mul_lo_u32 v14, v12, s12
	v_cmp_gt_i32_e32 vcc, s2, v12
                                        ; implicit-def: $vgpr5
	v_sub_u32_e32 v2, v3, v14
	v_cmp_gt_i32_e64 s[0:1], s3, v2
	s_and_b64 s[6:7], vcc, s[0:1]
	s_mov_b64 s[0:1], -1
	s_and_saveexec_b64 s[4:5], s[6:7]
	s_cbranch_execz .LBB1_222
; %bb.1:
	v_add_u32_e32 v5, 1, v3
	v_add_u32_e32 v8, s12, v5
	v_mov_b32_e32 v9, v4
	v_lshlrev_b64 v[8:9], 2, v[8:9]
	v_mov_b32_e32 v6, s9
	v_add_co_u32_e32 v8, vcc, s8, v8
	v_addc_co_u32_e32 v9, vcc, v6, v9, vcc
	v_mov_b32_e32 v6, v4
	v_lshlrev_b64 v[4:5], 2, v[5:6]
	v_mov_b32_e32 v6, s9
	v_add_co_u32_e32 v4, vcc, s8, v4
	v_addc_co_u32_e32 v5, vcc, v6, v5, vcc
	global_load_dword v9, v[8:9], off
	s_waitcnt vmcnt(1)
	v_lshrrev_b32_e32 v6, 4, v7
	global_load_dword v8, v[4:5], off
	v_lshrrev_b32_e32 v4, 3, v7
	v_lshrrev_b32_e32 v5, 2, v7
	v_and_b32_e32 v5, 8, v5
	s_waitcnt vmcnt(1)
	v_and_b32_e32 v10, 2, v9
	v_lshrrev_b32_e32 v9, 5, v9
	s_waitcnt vmcnt(0)
	v_lshrrev_b32_e32 v11, 6, v8
	v_and_or_b32 v4, v4, 1, v10
	v_and_b32_e32 v9, 4, v9
	v_and_b32_e32 v6, v6, v11
	v_or3_b32 v9, v4, v5, v9
	v_and_b32_e32 v4, 1, v6
	v_cmp_eq_u32_e32 vcc, 1, v4
                                        ; implicit-def: $vgpr5
	s_and_saveexec_b64 s[6:7], vcc
	s_cbranch_execz .LBB1_219
; %bb.2:
	v_and_b32_e32 v4, 40, v7
	v_cmp_ne_u32_e32 vcc, 0, v4
	v_and_b32_e32 v4, 0xa0, v8
	v_cmp_ne_u32_e64 s[0:1], 0, v4
	s_and_b64 s[0:1], vcc, s[0:1]
                                        ; implicit-def: $vgpr5
	s_and_saveexec_b64 s[14:15], s[0:1]
	s_xor_b64 s[0:1], exec, s[14:15]
; %bb.3:
	s_movk_i32 s14, 0xff00
	v_and_or_b32 v5, v7, s14, v9
                                        ; implicit-def: $vgpr2
                                        ; implicit-def: $vgpr12
                                        ; implicit-def: $vgpr14
                                        ; implicit-def: $vgpr3
; %bb.4:
	s_or_saveexec_b64 s[14:15], s[0:1]
	s_mov_b64 s[0:1], 0
	s_xor_b64 exec, exec, s[14:15]
	s_cbranch_execz .LBB1_218
; %bb.5:
	v_max_i32_e32 v4, 3, v12
	s_add_i32 s0, s12, -4
	v_add_u32_e32 v13, -3, v4
	v_add_u32_e32 v4, 4, v12
	v_mov_b32_e32 v5, s3
	v_cmp_gt_i32_e32 vcc, s0, v12
	v_cndmask_b32_e32 v15, v5, v4, vcc
	v_cmp_le_i32_e32 vcc, v13, v15
	v_mov_b32_e32 v10, 0
	v_mov_b32_e32 v11, 0
	s_and_saveexec_b64 s[16:17], vcc
	s_cbranch_execz .LBB1_19
; %bb.6:
	v_mul_lo_u32 v11, s12, v13
	s_add_i32 s0, s13, -4
	v_add_u32_e32 v6, 4, v2
	v_mov_b32_e32 v10, s2
	v_cmp_gt_i32_e32 vcc, s0, v2
	v_max_i32_e32 v5, 3, v2
	v_cndmask_b32_e32 v16, v10, v6, vcc
	v_sub_u32_e32 v6, v3, v11
	v_add_u32_e32 v4, -3, v5
	v_add_u32_e32 v17, -4, v5
	v_sub_u32_e32 v5, v6, v5
	v_cmp_le_i32_e32 vcc, v4, v16
	v_add_u32_e32 v4, v4, v11
	v_add_u32_e32 v18, 4, v5
	v_mov_b32_e32 v10, 0
	s_mov_b64 s[18:19], 0
	v_mov_b32_e32 v11, 0
	s_branch .LBB1_9
.LBB1_7:                                ;   in Loop: Header=BB1_9 Depth=1
	s_or_b64 exec, exec, s[22:23]
.LBB1_8:                                ;   in Loop: Header=BB1_9 Depth=1
	s_or_b64 exec, exec, s[20:21]
	v_add_u32_e32 v5, 1, v13
	v_cmp_ge_i32_e64 s[0:1], v13, v15
	v_add_u32_e32 v4, s12, v4
	v_subrev_u32_e32 v18, s12, v18
	s_or_b64 s[18:19], s[0:1], s[18:19]
	v_mov_b32_e32 v13, v5
	s_andn2_b64 exec, exec, s[18:19]
	s_cbranch_execz .LBB1_18
.LBB1_9:                                ; =>This Loop Header: Depth=1
                                        ;     Child Loop BB1_13 Depth 2
	s_and_saveexec_b64 s[20:21], vcc
	s_cbranch_execz .LBB1_8
; %bb.10:                               ;   in Loop: Header=BB1_9 Depth=1
	v_ashrrev_i32_e32 v5, 31, v4
	v_lshlrev_b64 v[5:6], 2, v[4:5]
	v_mov_b32_e32 v19, s9
	v_add_co_u32_e64 v5, s[0:1], s8, v5
	v_addc_co_u32_e64 v6, s[0:1], v19, v6, s[0:1]
	s_mov_b64 s[22:23], 0
	v_mov_b32_e32 v19, v18
	v_mov_b32_e32 v20, v17
	s_branch .LBB1_13
.LBB1_11:                               ;   in Loop: Header=BB1_13 Depth=2
	s_or_b64 exec, exec, s[26:27]
	v_add_u32_e32 v11, v23, v11
	v_add_u32_e32 v10, v22, v10
.LBB1_12:                               ;   in Loop: Header=BB1_13 Depth=2
	s_or_b64 exec, exec, s[24:25]
	v_add_u32_e32 v20, 1, v20
	v_cmp_ge_i32_e64 s[0:1], v20, v16
	s_or_b64 s[22:23], s[0:1], s[22:23]
	v_add_co_u32_e64 v5, s[0:1], 4, v5
	v_addc_co_u32_e64 v6, s[0:1], 0, v6, s[0:1]
	s_andn2_b64 exec, exec, s[22:23]
	s_cbranch_execz .LBB1_7
.LBB1_13:                               ;   Parent Loop BB1_9 Depth=1
                                        ; =>  This Inner Loop Header: Depth=2
	v_cmp_ne_u32_e64 s[0:1], 1, v19
	v_subrev_co_u32_e64 v19, s[2:3], 1, v19
	s_xor_b64 s[2:3], s[2:3], -1
	s_and_b64 s[0:1], s[0:1], s[2:3]
	s_and_saveexec_b64 s[24:25], s[0:1]
	s_cbranch_execz .LBB1_12
; %bb.14:                               ;   in Loop: Header=BB1_13 Depth=2
	global_load_dword v21, v[5:6], off
	v_mov_b32_e32 v22, 0
	s_waitcnt vmcnt(0)
	v_sub_u32_sdwa v23, v7, v21 dst_sel:DWORD dst_unused:UNUSED_PAD src0_sel:BYTE_1 src1_sel:BYTE_1
	v_sub_u32_e32 v24, 0, v23
	v_max_i32_e32 v23, v23, v24
	v_cmp_gt_u32_e64 s[0:1], 49, v23
	v_mov_b32_e32 v23, 0
	s_and_saveexec_b64 s[26:27], s[0:1]
	s_cbranch_execz .LBB1_16
; %bb.15:                               ;   in Loop: Header=BB1_13 Depth=2
	v_sub_u32_sdwa v23, v7, v21 dst_sel:DWORD dst_unused:UNUSED_PAD src0_sel:BYTE_2 src1_sel:BYTE_2
	v_sub_u32_e32 v24, 0, v23
	v_max_i32_e32 v23, v23, v24
	v_cmp_gt_u32_e64 s[0:1], 8, v23
	v_sub_u32_sdwa v23, v7, v21 dst_sel:DWORD dst_unused:UNUSED_PAD src0_sel:BYTE_3 src1_sel:BYTE_3
	v_sub_u32_e32 v24, 0, v23
	v_max_i32_e32 v23, v23, v24
	v_cmp_gt_u32_e64 s[2:3], 7, v23
	s_and_b64 s[0:1], s[0:1], s[2:3]
	v_cndmask_b32_e64 v23, 0, 1, s[0:1]
.LBB1_16:                               ;   in Loop: Header=BB1_13 Depth=2
	s_or_b64 exec, exec, s[26:27]
	v_sub_u32_sdwa v24, v8, v21 dst_sel:DWORD dst_unused:UNUSED_PAD src0_sel:BYTE_1 src1_sel:BYTE_1
	v_sub_u32_e32 v25, 0, v24
	v_max_i32_e32 v24, v24, v25
	v_cmp_gt_u32_e64 s[0:1], 49, v24
	s_and_saveexec_b64 s[26:27], s[0:1]
	s_cbranch_execz .LBB1_11
; %bb.17:                               ;   in Loop: Header=BB1_13 Depth=2
	v_sub_u32_sdwa v22, v8, v21 dst_sel:DWORD dst_unused:UNUSED_PAD src0_sel:BYTE_2 src1_sel:BYTE_2
	v_sub_u32_e32 v24, 0, v22
	v_max_i32_e32 v22, v22, v24
	v_sub_u32_sdwa v21, v8, v21 dst_sel:DWORD dst_unused:UNUSED_PAD src0_sel:BYTE_3 src1_sel:BYTE_3
	v_cmp_gt_u32_e64 s[0:1], 8, v22
	v_sub_u32_e32 v22, 0, v21
	v_max_i32_e32 v21, v21, v22
	v_cmp_gt_u32_e64 s[2:3], 7, v21
	s_and_b64 s[0:1], s[0:1], s[2:3]
	v_cndmask_b32_e64 v22, 0, 1, s[0:1]
	s_branch .LBB1_11
.LBB1_18:
	s_or_b64 exec, exec, s[18:19]
.LBB1_19:
	s_or_b64 exec, exec, s[16:17]
	v_ashrrev_i32_e32 v4, 31, v3
	v_lshlrev_b64 v[4:5], 2, v[3:4]
	v_mov_b32_e32 v3, s9
	v_add_co_u32_e32 v4, vcc, s8, v4
	v_addc_co_u32_e32 v5, vcc, v3, v5, vcc
	global_load_dword v3, v[4:5], off
	s_mul_i32 s13, s13, s12
	s_cmp_gt_i32 s13, 1
	s_cselect_b64 s[2:3], -1, 0
	s_mov_b32 s26, 1
	v_mov_b32_e32 v13, 1
	s_waitcnt vmcnt(0)
	v_and_b32_e32 v15, 0xff, v3
	v_bcnt_u32_b32 v3, v15, 0
	v_cmp_eq_u32_e32 vcc, 2, v3
	s_and_b64 s[16:17], vcc, s[2:3]
	s_and_saveexec_b64 s[0:1], s[16:17]
	s_cbranch_execz .LBB1_67
; %bb.20:
	v_mov_b32_e32 v16, 16
	s_mov_b64 s[16:17], 0
	s_movk_i32 s27, 0x7f
	s_movk_i32 s28, 0x80
	v_mov_b32_e32 v3, v2
	v_mov_b32_e32 v6, v12
	s_branch .LBB1_25
.LBB1_21:                               ;   in Loop: Header=BB1_25 Depth=1
	s_or_b64 exec, exec, s[24:25]
.LBB1_22:                               ;   in Loop: Header=BB1_25 Depth=1
	s_or_b64 exec, exec, s[22:23]
.LBB1_23:                               ;   in Loop: Header=BB1_25 Depth=1
	s_or_b64 exec, exec, s[20:21]
.LBB1_24:                               ;   in Loop: Header=BB1_25 Depth=1
	s_or_b64 exec, exec, s[18:19]
	v_mad_u64_u32 v[15:16], s[18:19], v6, s12, v[3:4]
	v_mov_b32_e32 v17, s9
	s_add_i32 s26, s26, 1
	v_ashrrev_i32_e32 v16, 31, v15
	v_lshlrev_b64 v[15:16], 2, v[15:16]
	s_cmp_ge_i32 s26, s13
	v_add_co_u32_e32 v15, vcc, s8, v15
	v_addc_co_u32_e32 v16, vcc, v17, v16, vcc
	global_load_dword v15, v[15:16], off
	v_lshrrev_b32_e32 v16, 4, v13
	v_lshlrev_b32_e32 v17, 4, v13
	v_cmp_lt_u32_e32 vcc, 8, v13
	v_cndmask_b32_e32 v16, v17, v16, vcc
	s_cselect_b64 s[18:19], -1, 0
	s_waitcnt vmcnt(0)
	v_and_b32_e32 v15, 0xff, v15
	v_bcnt_u32_b32 v13, v15, 0
	v_cmp_ne_u32_e32 vcc, 2, v13
	s_or_b64 s[18:19], vcc, s[18:19]
	s_and_b64 s[18:19], exec, s[18:19]
	s_or_b64 s[16:17], s[18:19], s[16:17]
	v_mov_b32_e32 v13, s26
	s_andn2_b64 exec, exec, s[16:17]
	s_cbranch_execz .LBB1_66
.LBB1_25:                               ; =>This Inner Loop Header: Depth=1
	v_sub_u32_e32 v13, v15, v16
	v_cmp_lt_i32_e32 vcc, 15, v13
	s_and_saveexec_b64 s[18:19], vcc
	s_xor_b64 s[18:19], exec, s[18:19]
	s_cbranch_execz .LBB1_47
; %bb.26:                               ;   in Loop: Header=BB1_25 Depth=1
	v_cmp_lt_i32_e32 vcc, 63, v13
	s_and_saveexec_b64 s[20:21], vcc
	s_xor_b64 s[20:21], exec, s[20:21]
	s_cbranch_execz .LBB1_36
; %bb.27:                               ;   in Loop: Header=BB1_25 Depth=1
	;; [unrolled: 5-line block ×3, first 2 shown]
	v_cmp_eq_u32_e32 vcc, s28, v13
	s_and_saveexec_b64 s[24:25], vcc
; %bb.29:                               ;   in Loop: Header=BB1_25 Depth=1
	v_add_u32_e32 v3, -1, v3
; %bb.30:                               ;   in Loop: Header=BB1_25 Depth=1
	s_or_b64 exec, exec, s[24:25]
.LBB1_31:                               ;   in Loop: Header=BB1_25 Depth=1
	s_andn2_saveexec_b64 s[22:23], s[22:23]
	s_cbranch_execz .LBB1_35
; %bb.32:                               ;   in Loop: Header=BB1_25 Depth=1
	v_cmp_eq_u32_e32 vcc, 64, v13
	s_and_saveexec_b64 s[24:25], vcc
; %bb.33:                               ;   in Loop: Header=BB1_25 Depth=1
	v_add_u32_e32 v6, 1, v6
	v_add_u32_e32 v3, -1, v3
; %bb.34:                               ;   in Loop: Header=BB1_25 Depth=1
	s_or_b64 exec, exec, s[24:25]
.LBB1_35:                               ;   in Loop: Header=BB1_25 Depth=1
	s_or_b64 exec, exec, s[22:23]
.LBB1_36:                               ;   in Loop: Header=BB1_25 Depth=1
	s_andn2_saveexec_b64 s[20:21], s[20:21]
	s_cbranch_execz .LBB1_46
; %bb.37:                               ;   in Loop: Header=BB1_25 Depth=1
	v_cmp_lt_i32_e32 vcc, 31, v13
	s_and_saveexec_b64 s[22:23], vcc
	s_xor_b64 s[22:23], exec, s[22:23]
	s_cbranch_execz .LBB1_41
; %bb.38:                               ;   in Loop: Header=BB1_25 Depth=1
	v_cmp_eq_u32_e32 vcc, 32, v13
	s_and_saveexec_b64 s[24:25], vcc
; %bb.39:                               ;   in Loop: Header=BB1_25 Depth=1
	v_add_u32_e32 v6, 1, v6
; %bb.40:                               ;   in Loop: Header=BB1_25 Depth=1
	s_or_b64 exec, exec, s[24:25]
.LBB1_41:                               ;   in Loop: Header=BB1_25 Depth=1
	s_andn2_saveexec_b64 s[22:23], s[22:23]
	s_cbranch_execz .LBB1_45
; %bb.42:                               ;   in Loop: Header=BB1_25 Depth=1
	v_cmp_eq_u32_e32 vcc, 16, v13
	s_and_saveexec_b64 s[24:25], vcc
; %bb.43:                               ;   in Loop: Header=BB1_25 Depth=1
	v_add_u32_e32 v6, 1, v6
	v_add_u32_e32 v3, 1, v3
; %bb.44:                               ;   in Loop: Header=BB1_25 Depth=1
	s_or_b64 exec, exec, s[24:25]
.LBB1_45:                               ;   in Loop: Header=BB1_25 Depth=1
	s_or_b64 exec, exec, s[22:23]
.LBB1_46:                               ;   in Loop: Header=BB1_25 Depth=1
	s_or_b64 exec, exec, s[20:21]
.LBB1_47:                               ;   in Loop: Header=BB1_25 Depth=1
	s_andn2_saveexec_b64 s[18:19], s[18:19]
	s_cbranch_execz .LBB1_24
; %bb.48:                               ;   in Loop: Header=BB1_25 Depth=1
	v_cmp_lt_i32_e32 vcc, 3, v13
	s_and_saveexec_b64 s[20:21], vcc
	s_xor_b64 s[20:21], exec, s[20:21]
	s_cbranch_execz .LBB1_58
; %bb.49:                               ;   in Loop: Header=BB1_25 Depth=1
	v_cmp_lt_i32_e32 vcc, 7, v13
	s_and_saveexec_b64 s[22:23], vcc
	s_xor_b64 s[22:23], exec, s[22:23]
	s_cbranch_execz .LBB1_53
; %bb.50:                               ;   in Loop: Header=BB1_25 Depth=1
	v_cmp_eq_u32_e32 vcc, 8, v13
	s_and_saveexec_b64 s[24:25], vcc
; %bb.51:                               ;   in Loop: Header=BB1_25 Depth=1
	v_add_u32_e32 v3, 1, v3
; %bb.52:                               ;   in Loop: Header=BB1_25 Depth=1
	s_or_b64 exec, exec, s[24:25]
.LBB1_53:                               ;   in Loop: Header=BB1_25 Depth=1
	s_andn2_saveexec_b64 s[22:23], s[22:23]
	s_cbranch_execz .LBB1_57
; %bb.54:                               ;   in Loop: Header=BB1_25 Depth=1
	v_cmp_eq_u32_e32 vcc, 4, v13
	s_and_saveexec_b64 s[24:25], vcc
; %bb.55:                               ;   in Loop: Header=BB1_25 Depth=1
	v_add_u32_e32 v6, -1, v6
	v_add_u32_e32 v3, 1, v3
; %bb.56:                               ;   in Loop: Header=BB1_25 Depth=1
	s_or_b64 exec, exec, s[24:25]
.LBB1_57:                               ;   in Loop: Header=BB1_25 Depth=1
	s_or_b64 exec, exec, s[22:23]
.LBB1_58:                               ;   in Loop: Header=BB1_25 Depth=1
	s_andn2_saveexec_b64 s[20:21], s[20:21]
	s_cbranch_execz .LBB1_23
; %bb.59:                               ;   in Loop: Header=BB1_25 Depth=1
	v_cmp_lt_i32_e32 vcc, 1, v13
	s_and_saveexec_b64 s[22:23], vcc
	s_xor_b64 s[22:23], exec, s[22:23]
	s_cbranch_execz .LBB1_63
; %bb.60:                               ;   in Loop: Header=BB1_25 Depth=1
	v_cmp_eq_u32_e32 vcc, 2, v13
	s_and_saveexec_b64 s[24:25], vcc
; %bb.61:                               ;   in Loop: Header=BB1_25 Depth=1
	v_add_u32_e32 v6, -1, v6
; %bb.62:                               ;   in Loop: Header=BB1_25 Depth=1
	s_or_b64 exec, exec, s[24:25]
.LBB1_63:                               ;   in Loop: Header=BB1_25 Depth=1
	s_andn2_saveexec_b64 s[22:23], s[22:23]
	s_cbranch_execz .LBB1_22
; %bb.64:                               ;   in Loop: Header=BB1_25 Depth=1
	v_cmp_eq_u32_e32 vcc, 1, v13
	s_and_saveexec_b64 s[24:25], vcc
	s_cbranch_execz .LBB1_21
; %bb.65:                               ;   in Loop: Header=BB1_25 Depth=1
	v_add_u32_e32 v6, -1, v6
	v_add_u32_e32 v3, -1, v3
	s_branch .LBB1_21
.LBB1_66:
	s_or_b64 exec, exec, s[16:17]
.LBB1_67:
	s_or_b64 exec, exec, s[0:1]
	v_add_u32_e32 v15, s12, v14
	v_ashrrev_i32_e32 v3, 31, v15
	v_ashrrev_i32_e32 v6, 31, v2
	v_add_co_u32_e32 v16, vcc, v15, v2
	v_addc_co_u32_e32 v17, vcc, v3, v6, vcc
	v_lshlrev_b64 v[16:17], 2, v[16:17]
	v_mov_b32_e32 v3, s9
	v_add_co_u32_e32 v16, vcc, s8, v16
	v_addc_co_u32_e32 v17, vcc, v3, v17, vcc
	global_load_dword v6, v[16:17], off offset:4
	v_cmp_gt_i32_e64 s[0:1], s13, v13
	v_add_u32_e32 v14, 1, v12
	v_add_u32_e32 v3, 1, v2
	s_waitcnt vmcnt(0)
	v_and_b32_e32 v18, 0xff, v6
	v_bcnt_u32_b32 v6, v18, 0
	v_cmp_eq_u32_e32 vcc, 2, v6
	s_and_b64 s[0:1], vcc, s[0:1]
	s_and_saveexec_b64 s[16:17], s[0:1]
	s_cbranch_execz .LBB1_115
; %bb.68:
	v_mov_b32_e32 v17, 1
	s_mov_b64 s[18:19], 0
	s_movk_i32 s26, 0x7f
	s_movk_i32 s27, 0x80
	v_mov_b32_e32 v6, v3
	v_mov_b32_e32 v16, v14
	s_branch .LBB1_73
.LBB1_69:                               ;   in Loop: Header=BB1_73 Depth=1
	s_or_b64 exec, exec, s[24:25]
.LBB1_70:                               ;   in Loop: Header=BB1_73 Depth=1
	s_or_b64 exec, exec, s[22:23]
.LBB1_71:                               ;   in Loop: Header=BB1_73 Depth=1
	s_or_b64 exec, exec, s[20:21]
.LBB1_72:                               ;   in Loop: Header=BB1_73 Depth=1
	s_or_b64 exec, exec, s[0:1]
	v_mad_u64_u32 v[18:19], s[0:1], v16, s12, v[6:7]
	v_mov_b32_e32 v20, s9
	v_add_u32_e32 v13, 1, v13
	v_ashrrev_i32_e32 v19, 31, v18
	v_lshlrev_b64 v[18:19], 2, v[18:19]
	v_add_co_u32_e32 v18, vcc, s8, v18
	v_addc_co_u32_e32 v19, vcc, v20, v19, vcc
	global_load_dword v18, v[18:19], off
	v_cmp_le_i32_e32 vcc, s13, v13
	v_lshrrev_b32_e32 v19, 4, v17
	v_lshlrev_b32_e32 v20, 4, v17
	s_waitcnt vmcnt(0)
	v_and_b32_e32 v18, 0xff, v18
	v_bcnt_u32_b32 v21, v18, 0
	v_cmp_ne_u32_e64 s[0:1], 2, v21
	s_or_b64 s[0:1], s[0:1], vcc
	s_and_b64 s[0:1], exec, s[0:1]
	v_cmp_lt_u32_e32 vcc, 8, v17
	s_or_b64 s[18:19], s[0:1], s[18:19]
	v_cndmask_b32_e32 v17, v20, v19, vcc
	s_andn2_b64 exec, exec, s[18:19]
	s_cbranch_execz .LBB1_114
.LBB1_73:                               ; =>This Inner Loop Header: Depth=1
	v_sub_u32_e32 v17, v18, v17
	v_cmp_lt_i32_e32 vcc, 15, v17
	s_and_saveexec_b64 s[0:1], vcc
	s_xor_b64 s[0:1], exec, s[0:1]
	s_cbranch_execz .LBB1_95
; %bb.74:                               ;   in Loop: Header=BB1_73 Depth=1
	v_cmp_lt_i32_e32 vcc, 63, v17
	s_and_saveexec_b64 s[20:21], vcc
	s_xor_b64 s[20:21], exec, s[20:21]
	s_cbranch_execz .LBB1_84
; %bb.75:                               ;   in Loop: Header=BB1_73 Depth=1
	;; [unrolled: 5-line block ×3, first 2 shown]
	v_cmp_eq_u32_e32 vcc, s27, v17
	s_and_saveexec_b64 s[24:25], vcc
; %bb.77:                               ;   in Loop: Header=BB1_73 Depth=1
	v_add_u32_e32 v6, -1, v6
; %bb.78:                               ;   in Loop: Header=BB1_73 Depth=1
	s_or_b64 exec, exec, s[24:25]
.LBB1_79:                               ;   in Loop: Header=BB1_73 Depth=1
	s_andn2_saveexec_b64 s[22:23], s[22:23]
	s_cbranch_execz .LBB1_83
; %bb.80:                               ;   in Loop: Header=BB1_73 Depth=1
	v_cmp_eq_u32_e32 vcc, 64, v17
	s_and_saveexec_b64 s[24:25], vcc
; %bb.81:                               ;   in Loop: Header=BB1_73 Depth=1
	v_add_u32_e32 v16, 1, v16
	v_add_u32_e32 v6, -1, v6
; %bb.82:                               ;   in Loop: Header=BB1_73 Depth=1
	s_or_b64 exec, exec, s[24:25]
.LBB1_83:                               ;   in Loop: Header=BB1_73 Depth=1
	s_or_b64 exec, exec, s[22:23]
.LBB1_84:                               ;   in Loop: Header=BB1_73 Depth=1
	s_andn2_saveexec_b64 s[20:21], s[20:21]
	s_cbranch_execz .LBB1_94
; %bb.85:                               ;   in Loop: Header=BB1_73 Depth=1
	v_cmp_lt_i32_e32 vcc, 31, v17
	s_and_saveexec_b64 s[22:23], vcc
	s_xor_b64 s[22:23], exec, s[22:23]
	s_cbranch_execz .LBB1_89
; %bb.86:                               ;   in Loop: Header=BB1_73 Depth=1
	v_cmp_eq_u32_e32 vcc, 32, v17
	s_and_saveexec_b64 s[24:25], vcc
; %bb.87:                               ;   in Loop: Header=BB1_73 Depth=1
	v_add_u32_e32 v16, 1, v16
; %bb.88:                               ;   in Loop: Header=BB1_73 Depth=1
	s_or_b64 exec, exec, s[24:25]
.LBB1_89:                               ;   in Loop: Header=BB1_73 Depth=1
	s_andn2_saveexec_b64 s[22:23], s[22:23]
	s_cbranch_execz .LBB1_93
; %bb.90:                               ;   in Loop: Header=BB1_73 Depth=1
	v_cmp_eq_u32_e32 vcc, 16, v17
	s_and_saveexec_b64 s[24:25], vcc
; %bb.91:                               ;   in Loop: Header=BB1_73 Depth=1
	v_add_u32_e32 v16, 1, v16
	v_add_u32_e32 v6, 1, v6
; %bb.92:                               ;   in Loop: Header=BB1_73 Depth=1
	s_or_b64 exec, exec, s[24:25]
.LBB1_93:                               ;   in Loop: Header=BB1_73 Depth=1
	s_or_b64 exec, exec, s[22:23]
.LBB1_94:                               ;   in Loop: Header=BB1_73 Depth=1
	s_or_b64 exec, exec, s[20:21]
.LBB1_95:                               ;   in Loop: Header=BB1_73 Depth=1
	s_andn2_saveexec_b64 s[0:1], s[0:1]
	s_cbranch_execz .LBB1_72
; %bb.96:                               ;   in Loop: Header=BB1_73 Depth=1
	v_cmp_lt_i32_e32 vcc, 3, v17
	s_and_saveexec_b64 s[20:21], vcc
	s_xor_b64 s[20:21], exec, s[20:21]
	s_cbranch_execz .LBB1_106
; %bb.97:                               ;   in Loop: Header=BB1_73 Depth=1
	v_cmp_lt_i32_e32 vcc, 7, v17
	s_and_saveexec_b64 s[22:23], vcc
	s_xor_b64 s[22:23], exec, s[22:23]
	s_cbranch_execz .LBB1_101
; %bb.98:                               ;   in Loop: Header=BB1_73 Depth=1
	v_cmp_eq_u32_e32 vcc, 8, v17
	s_and_saveexec_b64 s[24:25], vcc
; %bb.99:                               ;   in Loop: Header=BB1_73 Depth=1
	v_add_u32_e32 v6, 1, v6
; %bb.100:                              ;   in Loop: Header=BB1_73 Depth=1
	s_or_b64 exec, exec, s[24:25]
.LBB1_101:                              ;   in Loop: Header=BB1_73 Depth=1
	s_andn2_saveexec_b64 s[22:23], s[22:23]
	s_cbranch_execz .LBB1_105
; %bb.102:                              ;   in Loop: Header=BB1_73 Depth=1
	v_cmp_eq_u32_e32 vcc, 4, v17
	s_and_saveexec_b64 s[24:25], vcc
; %bb.103:                              ;   in Loop: Header=BB1_73 Depth=1
	v_add_u32_e32 v16, -1, v16
	v_add_u32_e32 v6, 1, v6
; %bb.104:                              ;   in Loop: Header=BB1_73 Depth=1
	s_or_b64 exec, exec, s[24:25]
.LBB1_105:                              ;   in Loop: Header=BB1_73 Depth=1
	s_or_b64 exec, exec, s[22:23]
.LBB1_106:                              ;   in Loop: Header=BB1_73 Depth=1
	s_andn2_saveexec_b64 s[20:21], s[20:21]
	s_cbranch_execz .LBB1_71
; %bb.107:                              ;   in Loop: Header=BB1_73 Depth=1
	v_cmp_lt_i32_e32 vcc, 1, v17
	s_and_saveexec_b64 s[22:23], vcc
	s_xor_b64 s[22:23], exec, s[22:23]
	s_cbranch_execz .LBB1_111
; %bb.108:                              ;   in Loop: Header=BB1_73 Depth=1
	v_cmp_eq_u32_e32 vcc, 2, v17
	s_and_saveexec_b64 s[24:25], vcc
; %bb.109:                              ;   in Loop: Header=BB1_73 Depth=1
	v_add_u32_e32 v16, -1, v16
; %bb.110:                              ;   in Loop: Header=BB1_73 Depth=1
	s_or_b64 exec, exec, s[24:25]
.LBB1_111:                              ;   in Loop: Header=BB1_73 Depth=1
	s_andn2_saveexec_b64 s[22:23], s[22:23]
	s_cbranch_execz .LBB1_70
; %bb.112:                              ;   in Loop: Header=BB1_73 Depth=1
	v_cmp_eq_u32_e32 vcc, 1, v17
	s_and_saveexec_b64 s[24:25], vcc
	s_cbranch_execz .LBB1_69
; %bb.113:                              ;   in Loop: Header=BB1_73 Depth=1
	v_add_u32_e32 v16, -1, v16
	v_add_u32_e32 v6, -1, v6
	s_branch .LBB1_69
.LBB1_114:
	s_or_b64 exec, exec, s[18:19]
.LBB1_115:
	s_or_b64 exec, exec, s[16:17]
	global_load_dword v4, v[4:5], off offset:4
	s_waitcnt vmcnt(0)
	v_and_b32_e32 v5, 0xff, v4
	v_bcnt_u32_b32 v4, v5, 0
	v_cmp_eq_u32_e32 vcc, 2, v4
	s_and_b64 s[2:3], vcc, s[2:3]
	v_mov_b32_e32 v4, 1
	s_and_saveexec_b64 s[0:1], s[2:3]
	s_cbranch_execz .LBB1_163
; %bb.116:
	s_mov_b32 s26, 1
	v_mov_b32_e32 v6, 64
	s_mov_b64 s[2:3], 0
	s_movk_i32 s27, 0x7f
	s_movk_i32 s28, 0x80
	s_branch .LBB1_118
.LBB1_117:                              ;   in Loop: Header=BB1_118 Depth=1
	s_or_b64 exec, exec, s[18:19]
	v_mad_u64_u32 v[5:6], s[16:17], v12, s12, v[3:4]
	v_mov_b32_e32 v16, s9
	s_add_i32 s26, s26, 1
	v_ashrrev_i32_e32 v6, 31, v5
	v_lshlrev_b64 v[5:6], 2, v[5:6]
	s_cmp_ge_i32 s26, s13
	v_add_co_u32_e32 v5, vcc, s8, v5
	v_addc_co_u32_e32 v6, vcc, v16, v6, vcc
	global_load_dword v5, v[5:6], off
	v_lshrrev_b32_e32 v6, 4, v4
	v_lshlrev_b32_e32 v16, 4, v4
	v_cmp_lt_u32_e32 vcc, 8, v4
	v_cndmask_b32_e32 v6, v16, v6, vcc
	s_cselect_b64 s[16:17], -1, 0
	s_waitcnt vmcnt(0)
	v_and_b32_e32 v5, 0xff, v5
	v_bcnt_u32_b32 v4, v5, 0
	v_cmp_ne_u32_e32 vcc, 2, v4
	s_or_b64 s[16:17], vcc, s[16:17]
	s_and_b64 s[16:17], exec, s[16:17]
	s_or_b64 s[2:3], s[16:17], s[2:3]
	v_mov_b32_e32 v4, s26
	s_andn2_b64 exec, exec, s[2:3]
	s_cbranch_execz .LBB1_162
.LBB1_118:                              ; =>This Inner Loop Header: Depth=1
	v_sub_u32_e32 v4, v5, v6
	v_cmp_lt_i32_e32 vcc, 15, v4
	s_mov_b64 s[16:17], 0
                                        ; implicit-def: $vgpr5
                                        ; implicit-def: $vgpr6
	s_and_saveexec_b64 s[18:19], vcc
	s_xor_b64 s[18:19], exec, s[18:19]
	s_cbranch_execnz .LBB1_121
; %bb.119:                              ;   in Loop: Header=BB1_118 Depth=1
	s_andn2_saveexec_b64 s[18:19], s[18:19]
	s_cbranch_execnz .LBB1_142
.LBB1_120:                              ;   in Loop: Header=BB1_118 Depth=1
	s_or_b64 exec, exec, s[18:19]
	s_and_saveexec_b64 s[18:19], s[16:17]
	s_cbranch_execz .LBB1_117
	s_branch .LBB1_161
.LBB1_121:                              ;   in Loop: Header=BB1_118 Depth=1
	v_cmp_lt_i32_e32 vcc, 63, v4
                                        ; implicit-def: $vgpr5
                                        ; implicit-def: $vgpr6
	s_and_saveexec_b64 s[20:21], vcc
	s_xor_b64 s[20:21], exec, s[20:21]
	s_cbranch_execz .LBB1_131
; %bb.122:                              ;   in Loop: Header=BB1_118 Depth=1
	v_cmp_lt_i32_e32 vcc, s27, v4
	s_and_saveexec_b64 s[16:17], vcc
	s_xor_b64 s[16:17], exec, s[16:17]
	s_cbranch_execz .LBB1_126
; %bb.123:                              ;   in Loop: Header=BB1_118 Depth=1
	v_cmp_eq_u32_e32 vcc, s28, v4
	s_and_saveexec_b64 s[22:23], vcc
; %bb.124:                              ;   in Loop: Header=BB1_118 Depth=1
	v_add_u32_e32 v3, -1, v3
; %bb.125:                              ;   in Loop: Header=BB1_118 Depth=1
	s_or_b64 exec, exec, s[22:23]
.LBB1_126:                              ;   in Loop: Header=BB1_118 Depth=1
	s_or_saveexec_b64 s[16:17], s[16:17]
	s_mov_b64 s[22:23], 0
                                        ; implicit-def: $vgpr5
                                        ; implicit-def: $vgpr6
	s_xor_b64 exec, exec, s[16:17]
	s_cbranch_execz .LBB1_130
; %bb.127:                              ;   in Loop: Header=BB1_118 Depth=1
	v_cmp_eq_u32_e32 vcc, 64, v4
                                        ; implicit-def: $vgpr5
                                        ; implicit-def: $vgpr6
	s_and_saveexec_b64 s[24:25], vcc
; %bb.128:                              ;   in Loop: Header=BB1_118 Depth=1
	s_mov_b64 s[22:23], exec
	v_add_u32_e32 v6, 1, v12
	v_add_u32_e32 v5, -1, v3
; %bb.129:                              ;   in Loop: Header=BB1_118 Depth=1
	s_or_b64 exec, exec, s[24:25]
	s_and_b64 s[22:23], s[22:23], exec
.LBB1_130:                              ;   in Loop: Header=BB1_118 Depth=1
	s_or_b64 exec, exec, s[16:17]
	s_and_b64 s[16:17], s[22:23], exec
.LBB1_131:                              ;   in Loop: Header=BB1_118 Depth=1
	s_andn2_saveexec_b64 s[20:21], s[20:21]
	s_cbranch_execz .LBB1_141
; %bb.132:                              ;   in Loop: Header=BB1_118 Depth=1
	v_cmp_lt_i32_e32 vcc, 31, v4
	s_and_saveexec_b64 s[22:23], vcc
	s_xor_b64 s[22:23], exec, s[22:23]
	s_cbranch_execz .LBB1_136
; %bb.133:                              ;   in Loop: Header=BB1_118 Depth=1
	v_cmp_eq_u32_e32 vcc, 32, v4
	s_and_saveexec_b64 s[24:25], vcc
; %bb.134:                              ;   in Loop: Header=BB1_118 Depth=1
	v_add_u32_e32 v12, 1, v12
; %bb.135:                              ;   in Loop: Header=BB1_118 Depth=1
	s_or_b64 exec, exec, s[24:25]
.LBB1_136:                              ;   in Loop: Header=BB1_118 Depth=1
	s_andn2_saveexec_b64 s[22:23], s[22:23]
	s_cbranch_execz .LBB1_140
; %bb.137:                              ;   in Loop: Header=BB1_118 Depth=1
	v_cmp_eq_u32_e32 vcc, 16, v4
	s_and_saveexec_b64 s[24:25], vcc
; %bb.138:                              ;   in Loop: Header=BB1_118 Depth=1
	v_add_u32_e32 v12, 1, v12
	v_add_u32_e32 v3, 1, v3
; %bb.139:                              ;   in Loop: Header=BB1_118 Depth=1
	s_or_b64 exec, exec, s[24:25]
.LBB1_140:                              ;   in Loop: Header=BB1_118 Depth=1
	s_or_b64 exec, exec, s[22:23]
.LBB1_141:                              ;   in Loop: Header=BB1_118 Depth=1
	s_or_b64 exec, exec, s[20:21]
	s_and_b64 s[16:17], s[16:17], exec
	s_andn2_saveexec_b64 s[18:19], s[18:19]
	s_cbranch_execz .LBB1_120
.LBB1_142:                              ;   in Loop: Header=BB1_118 Depth=1
	v_cmp_lt_i32_e32 vcc, 3, v4
                                        ; implicit-def: $vgpr17
                                        ; implicit-def: $vgpr16
	s_and_saveexec_b64 s[20:21], vcc
	s_xor_b64 s[20:21], exec, s[20:21]
	s_cbranch_execz .LBB1_152
; %bb.143:                              ;   in Loop: Header=BB1_118 Depth=1
	v_cmp_lt_i32_e32 vcc, 7, v4
                                        ; implicit-def: $vgpr17
	s_and_saveexec_b64 s[22:23], vcc
	s_xor_b64 s[22:23], exec, s[22:23]
	s_cbranch_execz .LBB1_147
; %bb.144:                              ;   in Loop: Header=BB1_118 Depth=1
	v_cmp_eq_u32_e32 vcc, 8, v4
	v_mov_b32_e32 v17, v3
	s_and_saveexec_b64 s[24:25], vcc
; %bb.145:                              ;   in Loop: Header=BB1_118 Depth=1
	v_add_u32_e32 v17, 1, v3
; %bb.146:                              ;   in Loop: Header=BB1_118 Depth=1
	s_or_b64 exec, exec, s[24:25]
.LBB1_147:                              ;   in Loop: Header=BB1_118 Depth=1
	s_or_saveexec_b64 s[22:23], s[22:23]
	v_mov_b32_e32 v16, v12
	s_xor_b64 exec, exec, s[22:23]
	s_cbranch_execz .LBB1_151
; %bb.148:                              ;   in Loop: Header=BB1_118 Depth=1
	v_cmp_eq_u32_e32 vcc, 4, v4
	v_mov_b32_e32 v17, v3
	v_mov_b32_e32 v16, v12
	s_and_saveexec_b64 s[24:25], vcc
; %bb.149:                              ;   in Loop: Header=BB1_118 Depth=1
	v_add_u32_e32 v16, -1, v12
	v_add_u32_e32 v17, 1, v3
; %bb.150:                              ;   in Loop: Header=BB1_118 Depth=1
	s_or_b64 exec, exec, s[24:25]
.LBB1_151:                              ;   in Loop: Header=BB1_118 Depth=1
	s_or_b64 exec, exec, s[22:23]
.LBB1_152:                              ;   in Loop: Header=BB1_118 Depth=1
	s_or_saveexec_b64 s[20:21], s[20:21]
	s_mov_b64 s[22:23], s[16:17]
	s_xor_b64 exec, exec, s[20:21]
	s_cbranch_execz .LBB1_160
; %bb.153:                              ;   in Loop: Header=BB1_118 Depth=1
	v_cmp_lt_i32_e32 vcc, 1, v4
                                        ; implicit-def: $vgpr16
	s_and_saveexec_b64 s[22:23], vcc
	s_xor_b64 s[22:23], exec, s[22:23]
	s_cbranch_execz .LBB1_157
; %bb.154:                              ;   in Loop: Header=BB1_118 Depth=1
	v_cmp_eq_u32_e32 vcc, 2, v4
	v_mov_b32_e32 v16, v12
	s_and_saveexec_b64 s[24:25], vcc
; %bb.155:                              ;   in Loop: Header=BB1_118 Depth=1
	v_add_u32_e32 v16, -1, v12
; %bb.156:                              ;   in Loop: Header=BB1_118 Depth=1
	s_or_b64 exec, exec, s[24:25]
.LBB1_157:                              ;   in Loop: Header=BB1_118 Depth=1
	s_or_saveexec_b64 s[22:23], s[22:23]
	s_mov_b64 s[24:25], s[16:17]
	s_xor_b64 exec, exec, s[22:23]
; %bb.158:                              ;   in Loop: Header=BB1_118 Depth=1
	v_cmp_eq_u32_e32 vcc, 1, v4
	s_andn2_b64 s[24:25], s[16:17], exec
	s_and_b64 s[30:31], vcc, exec
	s_or_b64 s[24:25], s[24:25], s[30:31]
	v_mov_b32_e32 v16, v12
; %bb.159:                              ;   in Loop: Header=BB1_118 Depth=1
	s_or_b64 exec, exec, s[22:23]
	s_andn2_b64 s[22:23], s[16:17], exec
	s_and_b64 s[24:25], s[24:25], exec
	s_or_b64 s[22:23], s[22:23], s[24:25]
	v_mov_b32_e32 v17, v3
.LBB1_160:                              ;   in Loop: Header=BB1_118 Depth=1
	s_or_b64 exec, exec, s[20:21]
	s_andn2_b64 s[16:17], s[16:17], exec
	s_and_b64 s[20:21], s[22:23], exec
	s_or_b64 s[16:17], s[16:17], s[20:21]
	v_mov_b32_e32 v5, v3
	v_mov_b32_e32 v6, v12
	;; [unrolled: 1-line block ×4, first 2 shown]
	s_or_b64 exec, exec, s[18:19]
	s_and_saveexec_b64 s[18:19], s[16:17]
	s_cbranch_execz .LBB1_117
.LBB1_161:                              ;   in Loop: Header=BB1_118 Depth=1
	v_add_u32_e32 v12, -1, v6
	v_add_u32_e32 v3, -1, v5
	s_branch .LBB1_117
.LBB1_162:
	s_or_b64 exec, exec, s[2:3]
.LBB1_163:
	s_or_b64 exec, exec, s[0:1]
	v_add_u32_e32 v5, v15, v2
	v_ashrrev_i32_e32 v6, 31, v5
	v_lshlrev_b64 v[5:6], 2, v[5:6]
	v_mov_b32_e32 v3, s9
	v_add_co_u32_e32 v5, vcc, s8, v5
	v_addc_co_u32_e32 v6, vcc, v3, v6, vcc
	global_load_dword v3, v[5:6], off
	v_cmp_gt_i32_e64 s[0:1], s13, v4
	s_waitcnt vmcnt(0)
	v_and_b32_e32 v5, 0xff, v3
	v_bcnt_u32_b32 v3, v5, 0
	v_cmp_eq_u32_e32 vcc, 2, v3
	s_and_b64 s[0:1], vcc, s[0:1]
	s_and_saveexec_b64 s[2:3], s[0:1]
	s_cbranch_execz .LBB1_211
; %bb.164:
	v_mov_b32_e32 v3, 4
	s_mov_b64 s[16:17], 0
	s_movk_i32 s24, 0x7f
	s_movk_i32 s25, 0x80
	s_branch .LBB1_169
.LBB1_165:                              ;   in Loop: Header=BB1_169 Depth=1
	s_or_b64 exec, exec, s[22:23]
.LBB1_166:                              ;   in Loop: Header=BB1_169 Depth=1
	s_or_b64 exec, exec, s[20:21]
.LBB1_167:                              ;   in Loop: Header=BB1_169 Depth=1
	s_or_b64 exec, exec, s[18:19]
.LBB1_168:                              ;   in Loop: Header=BB1_169 Depth=1
	s_or_b64 exec, exec, s[0:1]
	v_mad_u64_u32 v[5:6], s[0:1], v14, s12, v[2:3]
	v_mov_b32_e32 v12, s9
	v_add_u32_e32 v4, 1, v4
	v_ashrrev_i32_e32 v6, 31, v5
	v_lshlrev_b64 v[5:6], 2, v[5:6]
	v_add_co_u32_e32 v5, vcc, s8, v5
	v_addc_co_u32_e32 v6, vcc, v12, v6, vcc
	global_load_dword v5, v[5:6], off
	v_cmp_le_i32_e32 vcc, s13, v4
	v_lshrrev_b32_e32 v6, 4, v3
	v_lshlrev_b32_e32 v12, 4, v3
	s_waitcnt vmcnt(0)
	v_and_b32_e32 v5, 0xff, v5
	v_bcnt_u32_b32 v15, v5, 0
	v_cmp_ne_u32_e64 s[0:1], 2, v15
	s_or_b64 s[0:1], s[0:1], vcc
	s_and_b64 s[0:1], exec, s[0:1]
	v_cmp_lt_u32_e32 vcc, 8, v3
	s_or_b64 s[16:17], s[0:1], s[16:17]
	v_cndmask_b32_e32 v3, v12, v6, vcc
	s_andn2_b64 exec, exec, s[16:17]
	s_cbranch_execz .LBB1_210
.LBB1_169:                              ; =>This Inner Loop Header: Depth=1
	v_sub_u32_e32 v3, v5, v3
	v_cmp_lt_i32_e32 vcc, 15, v3
	s_and_saveexec_b64 s[0:1], vcc
	s_xor_b64 s[0:1], exec, s[0:1]
	s_cbranch_execz .LBB1_191
; %bb.170:                              ;   in Loop: Header=BB1_169 Depth=1
	v_cmp_lt_i32_e32 vcc, 63, v3
	s_and_saveexec_b64 s[18:19], vcc
	s_xor_b64 s[18:19], exec, s[18:19]
	s_cbranch_execz .LBB1_180
; %bb.171:                              ;   in Loop: Header=BB1_169 Depth=1
	;; [unrolled: 5-line block ×3, first 2 shown]
	v_cmp_eq_u32_e32 vcc, s25, v3
	s_and_saveexec_b64 s[22:23], vcc
; %bb.173:                              ;   in Loop: Header=BB1_169 Depth=1
	v_add_u32_e32 v2, -1, v2
; %bb.174:                              ;   in Loop: Header=BB1_169 Depth=1
	s_or_b64 exec, exec, s[22:23]
.LBB1_175:                              ;   in Loop: Header=BB1_169 Depth=1
	s_andn2_saveexec_b64 s[20:21], s[20:21]
	s_cbranch_execz .LBB1_179
; %bb.176:                              ;   in Loop: Header=BB1_169 Depth=1
	v_cmp_eq_u32_e32 vcc, 64, v3
	s_and_saveexec_b64 s[22:23], vcc
; %bb.177:                              ;   in Loop: Header=BB1_169 Depth=1
	v_add_u32_e32 v14, 1, v14
	v_add_u32_e32 v2, -1, v2
; %bb.178:                              ;   in Loop: Header=BB1_169 Depth=1
	s_or_b64 exec, exec, s[22:23]
.LBB1_179:                              ;   in Loop: Header=BB1_169 Depth=1
	s_or_b64 exec, exec, s[20:21]
.LBB1_180:                              ;   in Loop: Header=BB1_169 Depth=1
	s_andn2_saveexec_b64 s[18:19], s[18:19]
	s_cbranch_execz .LBB1_190
; %bb.181:                              ;   in Loop: Header=BB1_169 Depth=1
	v_cmp_lt_i32_e32 vcc, 31, v3
	s_and_saveexec_b64 s[20:21], vcc
	s_xor_b64 s[20:21], exec, s[20:21]
	s_cbranch_execz .LBB1_185
; %bb.182:                              ;   in Loop: Header=BB1_169 Depth=1
	v_cmp_eq_u32_e32 vcc, 32, v3
	s_and_saveexec_b64 s[22:23], vcc
; %bb.183:                              ;   in Loop: Header=BB1_169 Depth=1
	v_add_u32_e32 v14, 1, v14
; %bb.184:                              ;   in Loop: Header=BB1_169 Depth=1
	s_or_b64 exec, exec, s[22:23]
.LBB1_185:                              ;   in Loop: Header=BB1_169 Depth=1
	s_andn2_saveexec_b64 s[20:21], s[20:21]
	s_cbranch_execz .LBB1_189
; %bb.186:                              ;   in Loop: Header=BB1_169 Depth=1
	v_cmp_eq_u32_e32 vcc, 16, v3
	s_and_saveexec_b64 s[22:23], vcc
; %bb.187:                              ;   in Loop: Header=BB1_169 Depth=1
	v_add_u32_e32 v14, 1, v14
	v_add_u32_e32 v2, 1, v2
; %bb.188:                              ;   in Loop: Header=BB1_169 Depth=1
	s_or_b64 exec, exec, s[22:23]
.LBB1_189:                              ;   in Loop: Header=BB1_169 Depth=1
	s_or_b64 exec, exec, s[20:21]
.LBB1_190:                              ;   in Loop: Header=BB1_169 Depth=1
	s_or_b64 exec, exec, s[18:19]
.LBB1_191:                              ;   in Loop: Header=BB1_169 Depth=1
	s_andn2_saveexec_b64 s[0:1], s[0:1]
	s_cbranch_execz .LBB1_168
; %bb.192:                              ;   in Loop: Header=BB1_169 Depth=1
	v_cmp_lt_i32_e32 vcc, 3, v3
	s_and_saveexec_b64 s[18:19], vcc
	s_xor_b64 s[18:19], exec, s[18:19]
	s_cbranch_execz .LBB1_202
; %bb.193:                              ;   in Loop: Header=BB1_169 Depth=1
	v_cmp_lt_i32_e32 vcc, 7, v3
	s_and_saveexec_b64 s[20:21], vcc
	s_xor_b64 s[20:21], exec, s[20:21]
	s_cbranch_execz .LBB1_197
; %bb.194:                              ;   in Loop: Header=BB1_169 Depth=1
	v_cmp_eq_u32_e32 vcc, 8, v3
	s_and_saveexec_b64 s[22:23], vcc
; %bb.195:                              ;   in Loop: Header=BB1_169 Depth=1
	v_add_u32_e32 v2, 1, v2
; %bb.196:                              ;   in Loop: Header=BB1_169 Depth=1
	s_or_b64 exec, exec, s[22:23]
.LBB1_197:                              ;   in Loop: Header=BB1_169 Depth=1
	s_andn2_saveexec_b64 s[20:21], s[20:21]
	s_cbranch_execz .LBB1_201
; %bb.198:                              ;   in Loop: Header=BB1_169 Depth=1
	v_cmp_eq_u32_e32 vcc, 4, v3
	s_and_saveexec_b64 s[22:23], vcc
; %bb.199:                              ;   in Loop: Header=BB1_169 Depth=1
	v_add_u32_e32 v14, -1, v14
	v_add_u32_e32 v2, 1, v2
; %bb.200:                              ;   in Loop: Header=BB1_169 Depth=1
	s_or_b64 exec, exec, s[22:23]
.LBB1_201:                              ;   in Loop: Header=BB1_169 Depth=1
	s_or_b64 exec, exec, s[20:21]
.LBB1_202:                              ;   in Loop: Header=BB1_169 Depth=1
	s_andn2_saveexec_b64 s[18:19], s[18:19]
	s_cbranch_execz .LBB1_167
; %bb.203:                              ;   in Loop: Header=BB1_169 Depth=1
	v_cmp_lt_i32_e32 vcc, 1, v3
	s_and_saveexec_b64 s[20:21], vcc
	s_xor_b64 s[20:21], exec, s[20:21]
	s_cbranch_execz .LBB1_207
; %bb.204:                              ;   in Loop: Header=BB1_169 Depth=1
	v_cmp_eq_u32_e32 vcc, 2, v3
	s_and_saveexec_b64 s[22:23], vcc
; %bb.205:                              ;   in Loop: Header=BB1_169 Depth=1
	v_add_u32_e32 v14, -1, v14
; %bb.206:                              ;   in Loop: Header=BB1_169 Depth=1
	s_or_b64 exec, exec, s[22:23]
.LBB1_207:                              ;   in Loop: Header=BB1_169 Depth=1
	s_andn2_saveexec_b64 s[20:21], s[20:21]
	s_cbranch_execz .LBB1_166
; %bb.208:                              ;   in Loop: Header=BB1_169 Depth=1
	v_cmp_eq_u32_e32 vcc, 1, v3
	s_and_saveexec_b64 s[22:23], vcc
	s_cbranch_execz .LBB1_165
; %bb.209:                              ;   in Loop: Header=BB1_169 Depth=1
	v_add_u32_e32 v14, -1, v14
	v_add_u32_e32 v2, -1, v2
	s_branch .LBB1_165
.LBB1_210:
	s_or_b64 exec, exec, s[16:17]
.LBB1_211:
	s_or_b64 exec, exec, s[2:3]
	v_cmp_eq_u32_e32 vcc, 16, v7
	v_cndmask_b32_e64 v2, 0, 5, vcc
	v_cmp_eq_u32_e32 vcc, 64, v8
	v_cndmask_b32_e64 v3, 0, 5, vcc
	v_sub_u32_e32 v5, v11, v10
	v_cmp_gt_i32_e32 vcc, v11, v10
	v_cndmask_b32_e32 v5, 0, v5, vcc
	v_sub_u32_e32 v6, v10, v11
	v_cmp_lt_i32_e32 vcc, v11, v10
	v_cndmask_b32_e32 v6, 0, v6, vcc
	v_sub_u32_e64 v10, v13, v4 clamp
	v_sub_u32_e64 v4, v4, v13 clamp
	v_add3_u32 v2, v6, v2, v10
	v_add3_u32 v3, v5, v3, v4
	v_cmp_le_i32_e32 vcc, v2, v3
	s_mov_b64 s[2:3], 0
                                        ; implicit-def: $vgpr5
	s_and_saveexec_b64 s[0:1], vcc
	s_xor_b64 s[0:1], exec, s[0:1]
	s_cbranch_execz .LBB1_215
; %bb.212:
	v_cmp_gt_i32_e32 vcc, v3, v2
	s_mov_b64 s[2:3], -1
                                        ; implicit-def: $vgpr5
	s_and_saveexec_b64 s[8:9], vcc
	s_xor_b64 s[8:9], exec, s[8:9]
; %bb.213:
	v_and_b32_e32 v2, 0xffffff00, v7
	v_or3_b32 v5, v2, v9, 32
	s_xor_b64 s[2:3], exec, -1
; %bb.214:
	s_or_b64 exec, exec, s[8:9]
	s_and_b64 s[2:3], s[2:3], exec
.LBB1_215:
	s_andn2_saveexec_b64 s[0:1], s[0:1]
; %bb.216:
	s_movk_i32 s8, 0xff10
	v_and_or_b32 v5, v7, s8, v9
; %bb.217:
	s_or_b64 exec, exec, s[0:1]
	s_and_b64 s[0:1], s[2:3], exec
.LBB1_218:
	s_or_b64 exec, exec, s[14:15]
	s_orn2_b64 s[0:1], s[0:1], exec
.LBB1_219:
	s_or_b64 exec, exec, s[6:7]
	s_mov_b64 s[2:3], 0
	v_mov_b32_e32 v4, 0
	s_and_saveexec_b64 s[6:7], s[0:1]
; %bb.220:
	v_lshrrev_b32_e32 v3, 1, v8
	v_and_b32_e32 v2, 16, v7
	v_and_b32_e32 v3, 32, v3
	s_mov_b64 s[2:3], exec
	v_or3_b32 v4, v2, v3, v9
; %bb.221:
	s_or_b64 exec, exec, s[6:7]
	s_orn2_b64 s[0:1], s[2:3], exec
.LBB1_222:
	s_or_b64 exec, exec, s[4:5]
	s_and_saveexec_b64 s[2:3], s[0:1]
	s_cbranch_execz .LBB1_224
; %bb.223:
	s_movk_i32 s0, 0xff00
	s_waitcnt vmcnt(0)
	v_and_or_b32 v5, v7, s0, v4
.LBB1_224:
	s_or_b64 exec, exec, s[2:3]
	v_mov_b32_e32 v2, s11
	v_add_co_u32_e32 v0, vcc, s10, v0
	v_addc_co_u32_e32 v1, vcc, v2, v1, vcc
	global_store_dword v[0:1], v5, off
	s_endpgm
	.section	.rodata,"a",@progbits
	.p2align	6, 0x0
	.amdhsa_kernel _Z17eliminate_crossesPKjPjii
		.amdhsa_group_segment_fixed_size 0
		.amdhsa_private_segment_fixed_size 0
		.amdhsa_kernarg_size 280
		.amdhsa_user_sgpr_count 6
		.amdhsa_user_sgpr_private_segment_buffer 1
		.amdhsa_user_sgpr_dispatch_ptr 0
		.amdhsa_user_sgpr_queue_ptr 0
		.amdhsa_user_sgpr_kernarg_segment_ptr 1
		.amdhsa_user_sgpr_dispatch_id 0
		.amdhsa_user_sgpr_flat_scratch_init 0
		.amdhsa_user_sgpr_private_segment_size 0
		.amdhsa_uses_dynamic_stack 0
		.amdhsa_system_sgpr_private_segment_wavefront_offset 0
		.amdhsa_system_sgpr_workgroup_id_x 1
		.amdhsa_system_sgpr_workgroup_id_y 0
		.amdhsa_system_sgpr_workgroup_id_z 0
		.amdhsa_system_sgpr_workgroup_info 0
		.amdhsa_system_vgpr_workitem_id 0
		.amdhsa_next_free_vgpr 26
		.amdhsa_next_free_sgpr 32
		.amdhsa_reserve_vcc 1
		.amdhsa_reserve_flat_scratch 0
		.amdhsa_float_round_mode_32 0
		.amdhsa_float_round_mode_16_64 0
		.amdhsa_float_denorm_mode_32 3
		.amdhsa_float_denorm_mode_16_64 3
		.amdhsa_dx10_clamp 1
		.amdhsa_ieee_mode 1
		.amdhsa_fp16_overflow 0
		.amdhsa_exception_fp_ieee_invalid_op 0
		.amdhsa_exception_fp_denorm_src 0
		.amdhsa_exception_fp_ieee_div_zero 0
		.amdhsa_exception_fp_ieee_overflow 0
		.amdhsa_exception_fp_ieee_underflow 0
		.amdhsa_exception_fp_ieee_inexact 0
		.amdhsa_exception_int_div_zero 0
	.end_amdhsa_kernel
	.text
.Lfunc_end1:
	.size	_Z17eliminate_crossesPKjPjii, .Lfunc_end1-_Z17eliminate_crossesPKjPjii
                                        ; -- End function
	.set _Z17eliminate_crossesPKjPjii.num_vgpr, 26
	.set _Z17eliminate_crossesPKjPjii.num_agpr, 0
	.set _Z17eliminate_crossesPKjPjii.numbered_sgpr, 32
	.set _Z17eliminate_crossesPKjPjii.num_named_barrier, 0
	.set _Z17eliminate_crossesPKjPjii.private_seg_size, 0
	.set _Z17eliminate_crossesPKjPjii.uses_vcc, 1
	.set _Z17eliminate_crossesPKjPjii.uses_flat_scratch, 0
	.set _Z17eliminate_crossesPKjPjii.has_dyn_sized_stack, 0
	.set _Z17eliminate_crossesPKjPjii.has_recursion, 0
	.set _Z17eliminate_crossesPKjPjii.has_indirect_call, 0
	.section	.AMDGPU.csdata,"",@progbits
; Kernel info:
; codeLenInByte = 3716
; TotalNumSgprs: 36
; NumVgprs: 26
; ScratchSize: 0
; MemoryBound: 0
; FloatMode: 240
; IeeeMode: 1
; LDSByteSize: 0 bytes/workgroup (compile time only)
; SGPRBlocks: 4
; VGPRBlocks: 6
; NumSGPRsForWavesPerEU: 36
; NumVGPRsForWavesPerEU: 26
; Occupancy: 9
; WaveLimiterHint : 0
; COMPUTE_PGM_RSRC2:SCRATCH_EN: 0
; COMPUTE_PGM_RSRC2:USER_SGPR: 6
; COMPUTE_PGM_RSRC2:TRAP_HANDLER: 0
; COMPUTE_PGM_RSRC2:TGID_X_EN: 1
; COMPUTE_PGM_RSRC2:TGID_Y_EN: 0
; COMPUTE_PGM_RSRC2:TGID_Z_EN: 0
; COMPUTE_PGM_RSRC2:TIDIG_COMP_CNT: 0
	.section	.AMDGPU.gpr_maximums,"",@progbits
	.set amdgpu.max_num_vgpr, 0
	.set amdgpu.max_num_agpr, 0
	.set amdgpu.max_num_sgpr, 0
	.section	.AMDGPU.csdata,"",@progbits
	.type	__hip_cuid_586e2fdb4101f6f2,@object ; @__hip_cuid_586e2fdb4101f6f2
	.section	.bss,"aw",@nobits
	.globl	__hip_cuid_586e2fdb4101f6f2
__hip_cuid_586e2fdb4101f6f2:
	.byte	0                               ; 0x0
	.size	__hip_cuid_586e2fdb4101f6f2, 1

	.ident	"AMD clang version 22.0.0git (https://github.com/RadeonOpenCompute/llvm-project roc-7.2.4 26084 f58b06dce1f9c15707c5f808fd002e18c2accf7e)"
	.section	".note.GNU-stack","",@progbits
	.addrsig
	.addrsig_sym __hip_cuid_586e2fdb4101f6f2
	.amdgpu_metadata
---
amdhsa.kernels:
  - .args:
      - .actual_access:  read_only
        .address_space:  global
        .offset:         0
        .size:           8
        .value_kind:     global_buffer
      - .actual_access:  write_only
        .address_space:  global
        .offset:         8
        .size:           8
        .value_kind:     global_buffer
      - .offset:         16
        .size:           4
        .value_kind:     by_value
      - .offset:         20
        .size:           4
        .value_kind:     by_value
      - .offset:         24
        .size:           4
        .value_kind:     hidden_block_count_x
      - .offset:         28
        .size:           4
        .value_kind:     hidden_block_count_y
      - .offset:         32
        .size:           4
        .value_kind:     hidden_block_count_z
      - .offset:         36
        .size:           2
        .value_kind:     hidden_group_size_x
      - .offset:         38
        .size:           2
        .value_kind:     hidden_group_size_y
      - .offset:         40
        .size:           2
        .value_kind:     hidden_group_size_z
      - .offset:         42
        .size:           2
        .value_kind:     hidden_remainder_x
      - .offset:         44
        .size:           2
        .value_kind:     hidden_remainder_y
      - .offset:         46
        .size:           2
        .value_kind:     hidden_remainder_z
      - .offset:         64
        .size:           8
        .value_kind:     hidden_global_offset_x
      - .offset:         72
        .size:           8
        .value_kind:     hidden_global_offset_y
      - .offset:         80
        .size:           8
        .value_kind:     hidden_global_offset_z
      - .offset:         88
        .size:           2
        .value_kind:     hidden_grid_dims
    .group_segment_fixed_size: 0
    .kernarg_segment_align: 8
    .kernarg_segment_size: 280
    .language:       OpenCL C
    .language_version:
      - 2
      - 0
    .max_flat_workgroup_size: 1024
    .name:           _Z13check_connectPK15HIP_vector_typeIfLj3EEPjii
    .private_segment_fixed_size: 0
    .sgpr_count:     20
    .sgpr_spill_count: 0
    .symbol:         _Z13check_connectPK15HIP_vector_typeIfLj3EEPjii.kd
    .uniform_work_group_size: 1
    .uses_dynamic_stack: false
    .vgpr_count:     21
    .vgpr_spill_count: 0
    .wavefront_size: 64
  - .args:
      - .actual_access:  read_only
        .address_space:  global
        .offset:         0
        .size:           8
        .value_kind:     global_buffer
      - .actual_access:  write_only
        .address_space:  global
        .offset:         8
        .size:           8
        .value_kind:     global_buffer
      - .offset:         16
        .size:           4
        .value_kind:     by_value
      - .offset:         20
        .size:           4
        .value_kind:     by_value
      - .offset:         24
        .size:           4
        .value_kind:     hidden_block_count_x
      - .offset:         28
        .size:           4
        .value_kind:     hidden_block_count_y
      - .offset:         32
        .size:           4
        .value_kind:     hidden_block_count_z
      - .offset:         36
        .size:           2
        .value_kind:     hidden_group_size_x
      - .offset:         38
        .size:           2
        .value_kind:     hidden_group_size_y
      - .offset:         40
        .size:           2
        .value_kind:     hidden_group_size_z
      - .offset:         42
        .size:           2
        .value_kind:     hidden_remainder_x
      - .offset:         44
        .size:           2
        .value_kind:     hidden_remainder_y
      - .offset:         46
        .size:           2
        .value_kind:     hidden_remainder_z
      - .offset:         64
        .size:           8
        .value_kind:     hidden_global_offset_x
      - .offset:         72
        .size:           8
        .value_kind:     hidden_global_offset_y
      - .offset:         80
        .size:           8
        .value_kind:     hidden_global_offset_z
      - .offset:         88
        .size:           2
        .value_kind:     hidden_grid_dims
    .group_segment_fixed_size: 0
    .kernarg_segment_align: 8
    .kernarg_segment_size: 280
    .language:       OpenCL C
    .language_version:
      - 2
      - 0
    .max_flat_workgroup_size: 1024
    .name:           _Z17eliminate_crossesPKjPjii
    .private_segment_fixed_size: 0
    .sgpr_count:     36
    .sgpr_spill_count: 0
    .symbol:         _Z17eliminate_crossesPKjPjii.kd
    .uniform_work_group_size: 1
    .uses_dynamic_stack: false
    .vgpr_count:     26
    .vgpr_spill_count: 0
    .wavefront_size: 64
amdhsa.target:   amdgcn-amd-amdhsa--gfx906
amdhsa.version:
  - 1
  - 2
...

	.end_amdgpu_metadata
